;; amdgpu-corpus repo=ROCm/rocFFT kind=compiled arch=gfx1030 opt=O3
	.text
	.amdgcn_target "amdgcn-amd-amdhsa--gfx1030"
	.amdhsa_code_object_version 6
	.protected	bluestein_single_fwd_len4000_dim1_dp_op_CI_CI ; -- Begin function bluestein_single_fwd_len4000_dim1_dp_op_CI_CI
	.globl	bluestein_single_fwd_len4000_dim1_dp_op_CI_CI
	.p2align	8
	.type	bluestein_single_fwd_len4000_dim1_dp_op_CI_CI,@function
bluestein_single_fwd_len4000_dim1_dp_op_CI_CI: ; @bluestein_single_fwd_len4000_dim1_dp_op_CI_CI
; %bb.0:
	s_load_dwordx4 s[16:19], s[4:5], 0x28
	v_mul_u32_u24_e32 v1, 0x148, v0
	s_mov_b64 s[30:31], s[2:3]
	s_mov_b64 s[28:29], s[0:1]
	v_mov_b32_e32 v3, 0
	s_add_u32 s28, s28, s7
	v_lshrrev_b32_e32 v1, 16, v1
	s_addc_u32 s29, s29, 0
	s_mov_b32 s0, exec_lo
	v_add_nc_u32_e32 v2, s6, v1
	s_waitcnt lgkmcnt(0)
	v_cmpx_gt_u64_e64 s[16:17], v[2:3]
	s_cbranch_execz .LBB0_2
; %bb.1:
	s_clause 0x1
	s_load_dwordx4 s[0:3], s[4:5], 0x18
	s_load_dwordx4 s[8:11], s[4:5], 0x0
	v_mov_b32_e32 v4, v2
	v_mul_lo_u16 v1, 0xc8, v1
	s_mov_b32 s17, 0xbfee6f0e
	s_mov_b32 s22, 0x9b97f4a8
	;; [unrolled: 1-line block ×4, first 2 shown]
	v_sub_nc_u16 v142, v0, v1
	s_mov_b32 s20, s22
	v_and_b32_e32 v112, 0xffff, v142
	v_lshlrev_b32_e32 v38, 4, v112
	s_waitcnt lgkmcnt(0)
	s_load_dwordx4 s[12:15], s[0:1], 0x0
	buffer_store_dword v4, off, s[28:31], 0 ; 4-byte Folded Spill
	buffer_store_dword v5, off, s[28:31], 0 offset:4 ; 4-byte Folded Spill
	v_add_co_u32 v84, s0, s8, v38
	v_add_co_ci_u32_e64 v113, null, s9, 0, s0
	s_waitcnt lgkmcnt(0)
	v_mad_u64_u32 v[0:1], null, s14, v2, 0
	v_mad_u64_u32 v[2:3], null, s12, v112, 0
	s_mul_i32 s0, s13, 0x1900
	s_mul_hi_u32 s6, s12, 0x1900
	s_mul_i32 s1, s12, 0x1900
	s_add_i32 s6, s6, s0
	v_add_co_u32 v12, s0, 0x4800, v84
	v_mad_u64_u32 v[4:5], null, s15, v4, v[1:2]
	s_mov_b32 s14, 0x134454ff
	s_mov_b32 s15, 0x3fee6f0e
	;; [unrolled: 1-line block ×3, first 2 shown]
	v_mad_u64_u32 v[5:6], null, s13, v112, v[3:4]
	v_mov_b32_e32 v1, v4
	v_add_co_u32 v4, vcc_lo, 0x1800, v84
	v_lshlrev_b64 v[0:1], 4, v[0:1]
	v_mov_b32_e32 v3, v5
	v_add_co_ci_u32_e32 v5, vcc_lo, 0, v113, vcc_lo
	v_add_co_u32 v0, vcc_lo, s18, v0
	v_lshlrev_b64 v[2:3], 4, v[2:3]
	v_add_co_ci_u32_e32 v1, vcc_lo, s19, v1, vcc_lo
	s_mov_b32 s19, 0xbfd3c6ef
	v_add_co_u32 v0, vcc_lo, v0, v2
	v_add_co_ci_u32_e32 v1, vcc_lo, v1, v3, vcc_lo
	v_add_co_u32 v8, vcc_lo, v0, s1
	v_add_co_ci_u32_e32 v9, vcc_lo, s6, v1, vcc_lo
	global_load_dwordx4 v[59:62], v38, s[8:9]
	global_load_dwordx4 v[0:3], v[0:1], off
	global_load_dwordx4 v[55:58], v[4:5], off offset:256
	global_load_dwordx4 v[4:7], v[8:9], off
	v_add_co_u32 v10, vcc_lo, 0x3000, v84
	v_add_co_ci_u32_e32 v11, vcc_lo, 0, v113, vcc_lo
	v_add_co_ci_u32_e64 v13, vcc_lo, 0, v113, s0
	v_add_co_u32 v8, vcc_lo, v8, s1
	global_load_dwordx4 v[39:42], v[10:11], off offset:512
	v_add_co_ci_u32_e32 v9, vcc_lo, s6, v9, vcc_lo
	v_add_co_u32 v16, vcc_lo, v8, s1
	v_add_co_u32 v20, s0, 0x7800, v84
	v_add_co_ci_u32_e32 v17, vcc_lo, s6, v9, vcc_lo
	v_add_co_u32 v18, vcc_lo, 0x6000, v84
	v_add_co_ci_u32_e32 v19, vcc_lo, 0, v113, vcc_lo
	v_add_co_ci_u32_e64 v21, vcc_lo, 0, v113, s0
	global_load_dwordx4 v[8:11], v[8:9], off
	global_load_dwordx4 v[43:46], v[12:13], off offset:768
	global_load_dwordx4 v[12:15], v[16:17], off
	v_add_co_u32 v16, vcc_lo, v16, s1
	v_add_co_ci_u32_e32 v17, vcc_lo, s6, v17, vcc_lo
	global_load_dwordx4 v[47:50], v[18:19], off offset:1024
	v_add_co_u32 v24, vcc_lo, v16, s1
	v_add_co_ci_u32_e32 v25, vcc_lo, s6, v17, vcc_lo
	global_load_dwordx4 v[16:19], v[16:17], off
	global_load_dwordx4 v[51:54], v[20:21], off offset:1280
	global_load_dwordx4 v[20:23], v[24:25], off
	s_mul_i32 s0, s13, 0xffff2b80
	s_mov_b32 s13, 0xbfe2cf23
	s_sub_i32 s0, s0, s12
	s_mov_b32 s8, 0x372fe950
	s_mov_b32 s9, 0x3fd3c6ef
	;; [unrolled: 1-line block ×3, first 2 shown]
	s_waitcnt vmcnt(11)
	buffer_store_dword v59, off, s[28:31], 0 offset:312 ; 4-byte Folded Spill
	buffer_store_dword v60, off, s[28:31], 0 offset:316 ; 4-byte Folded Spill
	buffer_store_dword v61, off, s[28:31], 0 offset:320 ; 4-byte Folded Spill
	buffer_store_dword v62, off, s[28:31], 0 offset:324 ; 4-byte Folded Spill
	s_waitcnt vmcnt(9)
	buffer_store_dword v55, off, s[28:31], 0 offset:248 ; 4-byte Folded Spill
	buffer_store_dword v56, off, s[28:31], 0 offset:252 ; 4-byte Folded Spill
	buffer_store_dword v57, off, s[28:31], 0 offset:256 ; 4-byte Folded Spill
	buffer_store_dword v58, off, s[28:31], 0 offset:260 ; 4-byte Folded Spill
	;; [unrolled: 5-line block ×3, first 2 shown]
	v_mul_f64 v[26:27], v[2:3], v[61:62]
	v_mul_f64 v[28:29], v[0:1], v[61:62]
	;; [unrolled: 1-line block ×4, first 2 shown]
	s_waitcnt vmcnt(6)
	v_mul_f64 v[34:35], v[10:11], v[41:42]
	v_fma_f64 v[0:1], v[0:1], v[59:60], v[26:27]
	v_mul_f64 v[26:27], v[8:9], v[41:42]
	v_fma_f64 v[2:3], v[2:3], v[59:60], -v[28:29]
	s_waitcnt vmcnt(4)
	v_mul_f64 v[28:29], v[14:15], v[45:46]
	v_fma_f64 v[4:5], v[4:5], v[55:56], v[30:31]
	v_mul_f64 v[30:31], v[12:13], v[45:46]
	buffer_store_dword v43, off, s[28:31], 0 offset:72 ; 4-byte Folded Spill
	buffer_store_dword v44, off, s[28:31], 0 offset:76 ; 4-byte Folded Spill
	;; [unrolled: 1-line block ×4, first 2 shown]
	v_fma_f64 v[6:7], v[6:7], v[55:56], -v[32:33]
	s_waitcnt vmcnt(2)
	v_mul_f64 v[32:33], v[18:19], v[49:50]
	v_fma_f64 v[8:9], v[8:9], v[39:40], v[34:35]
	s_waitcnt vmcnt(0)
	v_mul_f64 v[34:35], v[22:23], v[53:54]
	v_fma_f64 v[10:11], v[10:11], v[39:40], -v[26:27]
	v_mul_f64 v[26:27], v[16:17], v[49:50]
	buffer_store_dword v47, off, s[28:31], 0 offset:104 ; 4-byte Folded Spill
	buffer_store_dword v48, off, s[28:31], 0 offset:108 ; 4-byte Folded Spill
	;; [unrolled: 1-line block ×4, first 2 shown]
	v_fma_f64 v[14:15], v[14:15], v[43:44], -v[30:31]
	v_add_co_u32 v30, vcc_lo, 0x9000, v84
	v_add_co_ci_u32_e32 v31, vcc_lo, 0, v113, vcc_lo
	v_fma_f64 v[12:13], v[12:13], v[43:44], v[28:29]
	v_mul_f64 v[28:29], v[20:21], v[53:54]
	v_add_co_u32 v36, vcc_lo, v24, s1
	v_add_co_ci_u32_e32 v37, vcc_lo, s6, v25, vcc_lo
	v_fma_f64 v[16:17], v[16:17], v[47:48], v[32:33]
	global_load_dwordx4 v[30:33], v[30:31], off offset:1536
	buffer_store_dword v51, off, s[28:31], 0 offset:120 ; 4-byte Folded Spill
	buffer_store_dword v52, off, s[28:31], 0 offset:124 ; 4-byte Folded Spill
	;; [unrolled: 1-line block ×4, first 2 shown]
	v_fma_f64 v[18:19], v[18:19], v[47:48], -v[26:27]
	global_load_dwordx4 v[24:27], v[36:37], off
	v_fma_f64 v[20:21], v[20:21], v[51:52], v[34:35]
	v_fma_f64 v[22:23], v[22:23], v[51:52], -v[28:29]
	s_waitcnt vmcnt(1)
	v_mov_b32_e32 v35, v33
	v_mov_b32_e32 v34, v32
	;; [unrolled: 1-line block ×4, first 2 shown]
	buffer_store_dword v32, off, s[28:31], 0 offset:136 ; 4-byte Folded Spill
	buffer_store_dword v33, off, s[28:31], 0 offset:140 ; 4-byte Folded Spill
	buffer_store_dword v34, off, s[28:31], 0 offset:144 ; 4-byte Folded Spill
	buffer_store_dword v35, off, s[28:31], 0 offset:148 ; 4-byte Folded Spill
	s_waitcnt vmcnt(0)
	v_mul_f64 v[28:29], v[26:27], v[34:35]
	v_mul_f64 v[30:31], v[24:25], v[34:35]
	v_fma_f64 v[24:25], v[24:25], v[32:33], v[28:29]
	v_add_co_u32 v28, vcc_lo, 0xa800, v84
	v_add_co_ci_u32_e32 v29, vcc_lo, 0, v113, vcc_lo
	v_fma_f64 v[26:27], v[26:27], v[32:33], -v[30:31]
	v_add_co_u32 v32, vcc_lo, v36, s1
	global_load_dwordx4 v[39:42], v[28:29], off offset:1792
	v_add_co_ci_u32_e32 v33, vcc_lo, s6, v37, vcc_lo
	s_waitcnt vmcnt(0)
	buffer_store_dword v39, off, s[28:31], 0 offset:152 ; 4-byte Folded Spill
	buffer_store_dword v40, off, s[28:31], 0 offset:156 ; 4-byte Folded Spill
	;; [unrolled: 1-line block ×4, first 2 shown]
	global_load_dwordx4 v[28:31], v[32:33], off
	s_waitcnt vmcnt(0)
	v_mul_f64 v[36:37], v[28:29], v[41:42]
	v_mul_f64 v[34:35], v[30:31], v[41:42]
	v_fma_f64 v[30:31], v[30:31], v[39:40], -v[36:37]
	v_add_co_u32 v36, vcc_lo, v32, s1
	v_add_co_ci_u32_e32 v37, vcc_lo, s6, v33, vcc_lo
	v_add_co_u32 v32, vcc_lo, 0xc800, v84
	v_add_co_ci_u32_e32 v33, vcc_lo, 0, v113, vcc_lo
	v_fma_f64 v[28:29], v[28:29], v[39:40], v[34:35]
	global_load_dwordx4 v[43:46], v[32:33], off
	s_waitcnt vmcnt(0)
	buffer_store_dword v43, off, s[28:31], 0 offset:168 ; 4-byte Folded Spill
	buffer_store_dword v44, off, s[28:31], 0 offset:172 ; 4-byte Folded Spill
	buffer_store_dword v45, off, s[28:31], 0 offset:176 ; 4-byte Folded Spill
	buffer_store_dword v46, off, s[28:31], 0 offset:180 ; 4-byte Folded Spill
	global_load_dwordx4 v[32:35], v[36:37], off
	v_add_co_u32 v36, vcc_lo, v36, s1
	v_add_co_ci_u32_e32 v37, vcc_lo, s6, v37, vcc_lo
	s_waitcnt vmcnt(0)
	v_mul_f64 v[39:40], v[34:35], v[45:46]
	v_mul_f64 v[41:42], v[32:33], v[45:46]
	v_fma_f64 v[32:33], v[32:33], v[43:44], v[39:40]
	v_add_co_u32 v39, vcc_lo, 0xe000, v84
	v_add_co_ci_u32_e32 v40, vcc_lo, 0, v113, vcc_lo
	v_fma_f64 v[34:35], v[34:35], v[43:44], -v[41:42]
	global_load_dwordx4 v[47:50], v[39:40], off offset:256
	s_waitcnt vmcnt(0)
	buffer_store_dword v47, off, s[28:31], 0 offset:184 ; 4-byte Folded Spill
	buffer_store_dword v48, off, s[28:31], 0 offset:188 ; 4-byte Folded Spill
	;; [unrolled: 1-line block ×4, first 2 shown]
	global_load_dwordx4 v[39:42], v[36:37], off
	v_mad_u64_u32 v[36:37], null, 0xffff2b80, s12, v[36:37]
	v_add_nc_u32_e32 v37, s0, v37
	s_waitcnt vmcnt(0)
	v_mul_f64 v[43:44], v[41:42], v[49:50]
	v_mul_f64 v[45:46], v[39:40], v[49:50]
	v_fma_f64 v[39:40], v[39:40], v[47:48], v[43:44]
	v_add_co_u32 v43, vcc_lo, 0x800, v84
	v_add_co_ci_u32_e32 v44, vcc_lo, 0, v113, vcc_lo
	v_fma_f64 v[41:42], v[41:42], v[47:48], -v[45:46]
	global_load_dwordx4 v[51:54], v[43:44], off offset:1152
	s_waitcnt vmcnt(0)
	buffer_store_dword v51, off, s[28:31], 0 offset:200 ; 4-byte Folded Spill
	buffer_store_dword v52, off, s[28:31], 0 offset:204 ; 4-byte Folded Spill
	;; [unrolled: 1-line block ×4, first 2 shown]
	global_load_dwordx4 v[43:46], v[36:37], off
	v_add_co_u32 v36, vcc_lo, v36, s1
	v_add_co_ci_u32_e32 v37, vcc_lo, s6, v37, vcc_lo
	s_waitcnt vmcnt(0)
	v_mul_f64 v[47:48], v[45:46], v[53:54]
	v_mul_f64 v[49:50], v[43:44], v[53:54]
	v_fma_f64 v[43:44], v[43:44], v[51:52], v[47:48]
	v_add_co_u32 v47, vcc_lo, 0x2000, v84
	v_add_co_ci_u32_e32 v48, vcc_lo, 0, v113, vcc_lo
	v_fma_f64 v[45:46], v[45:46], v[51:52], -v[49:50]
	global_load_dwordx4 v[55:58], v[47:48], off offset:1408
	s_waitcnt vmcnt(0)
	buffer_store_dword v55, off, s[28:31], 0 offset:216 ; 4-byte Folded Spill
	buffer_store_dword v56, off, s[28:31], 0 offset:220 ; 4-byte Folded Spill
	;; [unrolled: 1-line block ×4, first 2 shown]
	global_load_dwordx4 v[47:50], v[36:37], off
	v_add_co_u32 v36, vcc_lo, v36, s1
	v_add_co_ci_u32_e32 v37, vcc_lo, s6, v37, vcc_lo
	s_waitcnt vmcnt(0)
	v_mul_f64 v[51:52], v[49:50], v[57:58]
	v_mul_f64 v[53:54], v[47:48], v[57:58]
	v_fma_f64 v[47:48], v[47:48], v[55:56], v[51:52]
	v_add_co_u32 v51, vcc_lo, 0x3800, v84
	v_add_co_ci_u32_e32 v52, vcc_lo, 0, v113, vcc_lo
	v_fma_f64 v[49:50], v[49:50], v[55:56], -v[53:54]
	global_load_dwordx4 v[59:62], v[51:52], off offset:1664
	global_load_dwordx4 v[51:54], v[36:37], off
	v_add_co_u32 v36, vcc_lo, v36, s1
	v_add_co_ci_u32_e32 v37, vcc_lo, s6, v37, vcc_lo
	s_waitcnt vmcnt(1)
	buffer_store_dword v59, off, s[28:31], 0 offset:232 ; 4-byte Folded Spill
	buffer_store_dword v60, off, s[28:31], 0 offset:236 ; 4-byte Folded Spill
	;; [unrolled: 1-line block ×4, first 2 shown]
	s_waitcnt vmcnt(0)
	v_mul_f64 v[55:56], v[53:54], v[61:62]
	v_mul_f64 v[57:58], v[51:52], v[61:62]
	v_fma_f64 v[51:52], v[51:52], v[59:60], v[55:56]
	v_add_co_u32 v55, vcc_lo, 0x5000, v84
	v_add_co_ci_u32_e32 v56, vcc_lo, 0, v113, vcc_lo
	v_fma_f64 v[53:54], v[53:54], v[59:60], -v[57:58]
	global_load_dwordx4 v[63:66], v[55:56], off offset:1920
	s_waitcnt vmcnt(0)
	buffer_store_dword v63, off, s[28:31], 0 offset:264 ; 4-byte Folded Spill
	buffer_store_dword v64, off, s[28:31], 0 offset:268 ; 4-byte Folded Spill
	buffer_store_dword v65, off, s[28:31], 0 offset:272 ; 4-byte Folded Spill
	buffer_store_dword v66, off, s[28:31], 0 offset:276 ; 4-byte Folded Spill
	global_load_dwordx4 v[55:58], v[36:37], off
	v_add_co_u32 v36, vcc_lo, v36, s1
	v_add_co_ci_u32_e32 v37, vcc_lo, s6, v37, vcc_lo
	s_waitcnt vmcnt(0)
	v_mul_f64 v[59:60], v[57:58], v[65:66]
	v_mul_f64 v[61:62], v[55:56], v[65:66]
	v_fma_f64 v[55:56], v[55:56], v[63:64], v[59:60]
	v_add_co_u32 v59, vcc_lo, 0x7000, v84
	v_add_co_ci_u32_e32 v60, vcc_lo, 0, v113, vcc_lo
	v_fma_f64 v[57:58], v[57:58], v[63:64], -v[61:62]
	global_load_dwordx4 v[67:70], v[59:60], off offset:128
	s_waitcnt vmcnt(0)
	buffer_store_dword v67, off, s[28:31], 0 offset:280 ; 4-byte Folded Spill
	buffer_store_dword v68, off, s[28:31], 0 offset:284 ; 4-byte Folded Spill
	buffer_store_dword v69, off, s[28:31], 0 offset:288 ; 4-byte Folded Spill
	buffer_store_dword v70, off, s[28:31], 0 offset:292 ; 4-byte Folded Spill
	global_load_dwordx4 v[59:62], v[36:37], off
	v_add_co_u32 v36, vcc_lo, v36, s1
	v_add_co_ci_u32_e32 v37, vcc_lo, s6, v37, vcc_lo
	;; [unrolled: 16-line block ×6, first 2 shown]
	s_mov_b32 s6, 0x4755a5e
	s_mov_b32 s7, 0x3fe2cf23
	;; [unrolled: 1-line block ×3, first 2 shown]
	s_waitcnt vmcnt(0)
	v_mul_f64 v[79:80], v[77:78], v[87:88]
	v_mul_f64 v[81:82], v[75:76], v[87:88]
	v_fma_f64 v[75:76], v[75:76], v[85:86], v[79:80]
	v_add_co_u32 v79, vcc_lo, 0xe800, v84
	v_add_co_ci_u32_e32 v80, vcc_lo, 0, v113, vcc_lo
	v_fma_f64 v[77:78], v[77:78], v[85:86], -v[81:82]
	v_cmp_gt_u16_e32 vcc_lo, 0x64, v142
	global_load_dwordx4 v[87:90], v[79:80], off offset:1408
	s_waitcnt vmcnt(0)
	buffer_store_dword v87, off, s[28:31], 0 offset:8 ; 4-byte Folded Spill
	buffer_store_dword v88, off, s[28:31], 0 offset:12 ; 4-byte Folded Spill
	;; [unrolled: 1-line block ×4, first 2 shown]
	global_load_dwordx4 v[79:82], v[36:37], off
	s_waitcnt vmcnt(0)
	v_mul_f64 v[36:37], v[81:82], v[89:90]
	v_mul_f64 v[85:86], v[79:80], v[89:90]
	v_fma_f64 v[79:80], v[79:80], v[87:88], v[36:37]
	v_fma_f64 v[81:82], v[81:82], v[87:88], -v[85:86]
	ds_write_b128 v38, v[0:3]
	ds_write_b128 v38, v[4:7] offset:6400
	ds_write_b128 v38, v[8:11] offset:12800
	;; [unrolled: 1-line block ×19, first 2 shown]
	s_load_dwordx4 s[0:3], s[2:3], 0x0
	s_waitcnt lgkmcnt(0)
	s_waitcnt_vscnt null, 0x0
	s_barrier
	buffer_gl0_inv
	ds_read_b128 v[0:3], v38
	ds_read_b128 v[4:7], v38 offset:12800
	ds_read_b128 v[8:11], v38 offset:25600
	v_mov_b32_e32 v39, 4
	s_waitcnt lgkmcnt(1)
	v_add_f64 v[12:13], v[0:1], v[4:5]
	s_waitcnt lgkmcnt(0)
	v_add_f64 v[64:65], v[4:5], -v[8:9]
	v_add_f64 v[48:49], v[8:9], -v[4:5]
	;; [unrolled: 1-line block ×4, first 2 shown]
	v_add_f64 v[16:17], v[12:13], v[8:9]
	v_add_f64 v[12:13], v[2:3], v[6:7]
	;; [unrolled: 1-line block ×3, first 2 shown]
	ds_read_b128 v[12:15], v38 offset:38400
	s_waitcnt lgkmcnt(0)
	v_add_f64 v[138:139], v[8:9], v[12:13]
	v_add_f64 v[20:21], v[10:11], -v[14:15]
	v_add_f64 v[86:87], v[10:11], v[14:15]
	v_add_f64 v[22:23], v[8:9], -v[12:13]
	ds_read_b128 v[8:11], v38 offset:51200
	v_fma_f64 v[138:139], v[138:139], -0.5, v[0:1]
	s_waitcnt lgkmcnt(0)
	v_add_f64 v[24:25], v[6:7], -v[10:11]
	v_add_f64 v[90:91], v[4:5], v[8:9]
	v_add_f64 v[26:27], v[4:5], -v[8:9]
	v_add_f64 v[94:95], v[6:7], v[10:11]
	v_add_f64 v[4:5], v[16:17], v[12:13]
	;; [unrolled: 1-line block ×3, first 2 shown]
	v_add_f64 v[72:73], v[8:9], -v[12:13]
	v_add_f64 v[56:57], v[12:13], -v[8:9]
	;; [unrolled: 1-line block ×4, first 2 shown]
	v_fma_f64 v[90:91], v[90:91], -0.5, v[0:1]
	v_fma_f64 v[94:95], v[94:95], -0.5, v[2:3]
	v_add_f64 v[88:89], v[4:5], v[8:9]
	v_add_f64 v[92:93], v[6:7], v[10:11]
	ds_read_b128 v[4:7], v38 offset:6400
	ds_read_b128 v[8:11], v38 offset:19200
	;; [unrolled: 1-line block ×3, first 2 shown]
	v_add_f64 v[48:49], v[48:49], v[56:57]
	v_add_f64 v[52:53], v[52:53], v[58:59]
	s_waitcnt lgkmcnt(1)
	v_add_f64 v[16:17], v[4:5], v[8:9]
	s_waitcnt lgkmcnt(0)
	v_add_f64 v[76:77], v[8:9], -v[12:13]
	v_add_f64 v[60:61], v[12:13], -v[8:9]
	;; [unrolled: 1-line block ×4, first 2 shown]
	v_add_f64 v[28:29], v[16:17], v[12:13]
	v_add_f64 v[16:17], v[6:7], v[10:11]
	;; [unrolled: 1-line block ×3, first 2 shown]
	ds_read_b128 v[16:19], v38 offset:44800
	s_waitcnt lgkmcnt(0)
	v_add_f64 v[98:99], v[12:13], v[16:17]
	v_add_f64 v[32:33], v[14:15], -v[18:19]
	v_add_f64 v[102:103], v[14:15], v[18:19]
	v_add_f64 v[34:35], v[12:13], -v[16:17]
	ds_read_b128 v[12:15], v38 offset:57600
	v_fma_f64 v[98:99], v[98:99], -0.5, v[4:5]
	s_waitcnt lgkmcnt(0)
	v_add_f64 v[42:43], v[10:11], -v[14:15]
	v_add_f64 v[104:105], v[8:9], v[12:13]
	v_add_f64 v[40:41], v[8:9], -v[12:13]
	v_add_f64 v[106:107], v[10:11], v[14:15]
	v_add_f64 v[8:9], v[28:29], v[16:17]
	;; [unrolled: 1-line block ×3, first 2 shown]
	v_add_f64 v[80:81], v[12:13], -v[16:17]
	v_add_f64 v[68:69], v[16:17], -v[12:13]
	;; [unrolled: 1-line block ×4, first 2 shown]
	v_fma_f64 v[102:103], v[102:103], -0.5, v[6:7]
	v_fma_f64 v[104:105], v[104:105], -0.5, v[4:5]
	;; [unrolled: 1-line block ×3, first 2 shown]
	v_add_f64 v[108:109], v[8:9], v[12:13]
	v_add_f64 v[110:111], v[10:11], v[14:15]
	ds_read_b128 v[8:11], v38 offset:3200
	ds_read_b128 v[118:121], v38 offset:16000
	;; [unrolled: 1-line block ×10, first 2 shown]
	s_waitcnt lgkmcnt(0)
	s_barrier
	buffer_gl0_inv
	v_add_f64 v[76:77], v[76:77], v[80:81]
	v_add_f64 v[70:71], v[62:63], v[70:71]
	;; [unrolled: 1-line block ×4, first 2 shown]
	v_fma_f64 v[58:59], v[32:33], s[16:17], v[104:105]
	v_fma_f64 v[56:57], v[34:35], s[14:15], v[106:107]
	v_add_f64 v[12:13], v[8:9], v[118:119]
	v_add_f64 v[44:45], v[118:119], -v[14:15]
	v_add_f64 v[28:29], v[14:15], -v[118:119]
	v_add_f64 v[114:115], v[16:17], v[124:125]
	v_add_f64 v[46:47], v[120:121], -v[16:17]
	v_add_f64 v[30:31], v[16:17], -v[120:121]
	v_add_f64 v[116:117], v[118:119], v[126:127]
	v_add_f64 v[18:19], v[118:119], -v[126:127]
	v_add_f64 v[118:119], v[120:121], v[128:129]
	v_add_f64 v[140:141], v[14:15], v[122:123]
	v_add_f64 v[54:55], v[128:129], -v[124:125]
	v_add_f64 v[136:137], v[124:125], -v[128:129]
	v_add_f64 v[163:164], v[130:131], v[151:152]
	v_add_f64 v[165:166], v[132:133], v[153:154]
	v_add_f64 v[134:135], v[149:150], -v[157:158]
	v_add_f64 v[167:168], v[147:148], v[155:156]
	v_add_f64 v[4:5], v[88:89], v[108:109]
	;; [unrolled: 1-line block ×3, first 2 shown]
	v_add_f64 v[169:170], v[157:158], -v[153:154]
	v_fma_f64 v[58:59], v[42:43], s[6:7], v[58:59]
	v_fma_f64 v[56:57], v[40:41], s[12:13], v[56:57]
	v_add_f64 v[36:37], v[12:13], v[14:15]
	v_add_f64 v[12:13], v[10:11], v[120:121]
	v_add_f64 v[14:15], v[14:15], -v[122:123]
	v_fma_f64 v[58:59], v[68:69], s[8:9], v[58:59]
	v_fma_f64 v[56:57], v[70:71], s[8:9], v[56:57]
	v_add_f64 v[96:97], v[36:37], v[122:123]
	v_add_f64 v[50:51], v[12:13], v[16:17]
	v_add_f64 v[12:13], v[16:17], -v[124:125]
	v_add_f64 v[16:17], v[120:121], -v[128:129]
	;; [unrolled: 1-line block ×3, first 2 shown]
	v_mul_f64 v[60:61], v[56:57], s[14:15]
	v_add_f64 v[100:101], v[96:97], v[126:127]
	v_add_f64 v[120:121], v[50:51], v[124:125]
	v_add_f64 v[50:51], v[126:127], -v[122:123]
	v_add_f64 v[124:125], v[130:131], -v[147:148]
	;; [unrolled: 1-line block ×4, first 2 shown]
	v_add_f64 v[36:37], v[28:29], v[36:37]
	v_fma_f64 v[60:61], v[58:59], s[8:9], v[60:61]
	v_mul_f64 v[58:59], v[58:59], s[16:17]
	v_add_f64 v[96:97], v[120:121], v[128:129]
	v_add_f64 v[120:121], v[143:144], v[147:148]
	v_add_f64 v[128:129], v[147:148], -v[130:131]
	v_fma_f64 v[62:63], v[56:57], s[8:9], v[58:59]
	v_fma_f64 v[56:57], v[20:21], s[16:17], v[90:91]
	v_add_f64 v[159:160], v[120:121], v[130:131]
	v_add_f64 v[120:121], v[145:146], v[149:150]
	v_add_f64 v[130:131], v[149:150], -v[132:133]
	v_fma_f64 v[58:59], v[22:23], s[14:15], v[94:95]
	v_fma_f64 v[56:57], v[24:25], s[6:7], v[56:57]
	v_add_f64 v[161:162], v[120:121], v[132:133]
	v_add_f64 v[120:121], v[132:133], -v[153:154]
	v_add_f64 v[132:133], v[147:148], -v[155:156]
	v_add_f64 v[147:148], v[149:150], v[157:158]
	v_add_f64 v[149:150], v[159:160], v[151:152]
	v_fma_f64 v[58:59], v[26:27], s[12:13], v[58:59]
	v_add_f64 v[82:83], v[130:131], v[169:170]
	v_add_f64 v[159:160], v[161:162], v[153:154]
	v_add_f64 v[161:162], v[155:156], -v[151:152]
	v_add_f64 v[151:152], v[151:152], -v[155:156]
	;; [unrolled: 1-line block ×3, first 2 shown]
	v_add_f64 v[149:150], v[149:150], v[155:156]
	v_add_f64 v[155:156], v[159:160], v[157:158]
	v_fma_f64 v[157:158], v[86:87], -0.5, v[2:3]
	v_add_f64 v[85:86], v[88:89], -v[108:109]
	v_add_f64 v[87:88], v[92:93], -v[110:111]
	v_mul_lo_u16 v89, v142, 10
	v_fma_f64 v[110:111], v[114:115], -0.5, v[10:11]
	v_fma_f64 v[108:109], v[116:117], -0.5, v[8:9]
	;; [unrolled: 1-line block ×4, first 2 shown]
	v_lshlrev_b32_sdwa v115, v39, v89 dst_sel:DWORD dst_unused:UNUSED_PAD src0_sel:DWORD src1_sel:WORD_0
	ds_write_b128 v115, v[4:7]
	ds_write_b128 v115, v[85:88] offset:80
	v_fma_f64 v[4:5], v[42:43], s[14:15], v[98:99]
	v_fma_f64 v[6:7], v[40:41], s[16:17], v[102:103]
	v_add_f64 v[85:86], v[64:65], v[72:73]
	v_add_f64 v[87:88], v[66:67], v[74:75]
	v_fma_f64 v[92:93], v[140:141], -0.5, v[8:9]
	v_fma_f64 v[140:141], v[167:168], -0.5, v[143:144]
	;; [unrolled: 1-line block ×3, first 2 shown]
	v_add_f64 v[80:81], v[128:129], v[161:162]
	v_fma_f64 v[145:146], v[147:148], -0.5, v[145:146]
	v_add_f64 v[0:1], v[100:101], v[149:150]
	v_add_f64 v[2:3], v[96:97], v[155:156]
	v_add_f64 v[8:9], v[100:101], -v[149:150]
	v_add_f64 v[10:11], v[96:97], -v[155:156]
	v_fma_f64 v[4:5], v[32:33], s[6:7], v[4:5]
	v_fma_f64 v[6:7], v[34:35], s[12:13], v[6:7]
	;; [unrolled: 1-line block ×6, first 2 shown]
	v_mul_f64 v[64:65], v[4:5], s[22:23]
	v_mul_f64 v[4:5], v[4:5], s[12:13]
	v_fma_f64 v[64:65], v[6:7], s[6:7], v[64:65]
	v_fma_f64 v[66:67], v[6:7], s[22:23], v[4:5]
	;; [unrolled: 1-line block ×8, first 2 shown]
	v_add_f64 v[4:5], v[72:73], v[64:65]
	v_add_f64 v[64:65], v[72:73], -v[64:65]
	v_fma_f64 v[72:73], v[48:49], s[8:9], v[56:57]
	v_add_f64 v[6:7], v[74:75], v[66:67]
	v_add_f64 v[66:67], v[74:75], -v[66:67]
	v_fma_f64 v[74:75], v[52:53], s[8:9], v[58:59]
	;; [unrolled: 3-line block ×4, first 2 shown]
	v_fma_f64 v[24:25], v[24:25], s[16:17], v[138:139]
	v_fma_f64 v[48:49], v[48:49], s[8:9], v[72:73]
	;; [unrolled: 1-line block ×18, first 2 shown]
	v_add_f64 v[76:77], v[44:45], v[50:51]
	v_add_f64 v[50:51], v[124:125], v[151:152]
	v_fma_f64 v[70:71], v[70:71], s[8:9], v[72:73]
	v_fma_f64 v[24:25], v[34:35], s[6:7], v[40:41]
	;; [unrolled: 1-line block ×3, first 2 shown]
	v_mul_f64 v[22:23], v[26:27], s[20:21]
	v_mul_f64 v[72:73], v[68:69], s[18:19]
	v_fma_f64 v[20:21], v[78:79], s[8:9], v[24:25]
	v_add_f64 v[78:79], v[46:47], v[54:55]
	v_fma_f64 v[72:73], v[70:71], s[14:15], v[72:73]
	v_mul_f64 v[70:71], v[70:71], s[18:19]
	v_fma_f64 v[24:25], v[20:21], s[6:7], v[22:23]
	v_mul_f64 v[20:21], v[20:21], s[20:21]
	v_fma_f64 v[74:75], v[68:69], s[16:17], v[70:71]
	v_add_f64 v[68:69], v[48:49], v[72:73]
	v_add_f64 v[72:73], v[48:49], -v[72:73]
	v_add_f64 v[48:49], v[30:31], v[136:137]
	v_fma_f64 v[30:31], v[120:121], s[16:17], v[140:141]
	v_fma_f64 v[26:27], v[26:27], s[12:13], v[20:21]
	v_add_f64 v[20:21], v[32:33], v[24:25]
	v_add_f64 v[24:25], v[32:33], -v[24:25]
	v_fma_f64 v[32:33], v[134:135], s[14:15], v[118:119]
	v_add_f64 v[70:71], v[52:53], v[74:75]
	v_add_f64 v[74:75], v[52:53], -v[74:75]
	v_add_f64 v[52:53], v[126:127], v[153:154]
	v_fma_f64 v[30:31], v[134:135], s[6:7], v[30:31]
	v_add_f64 v[22:23], v[34:35], v[26:27]
	v_add_f64 v[26:27], v[34:35], -v[26:27]
	v_fma_f64 v[34:35], v[132:133], s[16:17], v[143:144]
	v_fma_f64 v[32:33], v[120:121], s[6:7], v[32:33]
	ds_write_b128 v115, v[4:7] offset:16
	ds_write_b128 v115, v[56:59] offset:32
	;; [unrolled: 1-line block ×8, first 2 shown]
	v_fma_f64 v[28:29], v[52:53], s[8:9], v[28:29]
	v_fma_f64 v[30:31], v[50:51], s[8:9], v[30:31]
	;; [unrolled: 1-line block ×5, first 2 shown]
	v_mul_f64 v[40:41], v[32:33], s[22:23]
	v_mul_f64 v[32:33], v[32:33], s[12:13]
	v_fma_f64 v[40:41], v[34:35], s[6:7], v[40:41]
	v_fma_f64 v[42:43], v[34:35], s[22:23], v[32:33]
	;; [unrolled: 1-line block ×8, first 2 shown]
	v_add_f64 v[32:33], v[44:45], v[40:41]
	v_add_f64 v[40:41], v[44:45], -v[40:41]
	v_mul_f64 v[44:45], v[28:29], s[14:15]
	v_add_f64 v[34:35], v[46:47], v[42:43]
	v_add_f64 v[42:43], v[46:47], -v[42:43]
	v_fma_f64 v[44:45], v[30:31], s[8:9], v[44:45]
	v_mul_f64 v[30:31], v[30:31], s[16:17]
	v_fma_f64 v[46:47], v[28:29], s[8:9], v[30:31]
	v_fma_f64 v[28:29], v[12:13], s[16:17], v[108:109]
	;; [unrolled: 1-line block ×7, first 2 shown]
	v_add_f64 v[28:29], v[54:55], v[44:45]
	v_add_f64 v[44:45], v[54:55], -v[44:45]
	v_fma_f64 v[54:55], v[12:13], s[14:15], v[108:109]
	v_add_f64 v[30:31], v[85:86], v[46:47]
	v_add_f64 v[46:47], v[85:86], -v[46:47]
	v_fma_f64 v[54:55], v[16:17], s[12:13], v[54:55]
	v_fma_f64 v[16:17], v[16:17], s[16:17], v[92:93]
	;; [unrolled: 1-line block ×15, first 2 shown]
	v_mul_f64 v[52:53], v[48:49], s[18:19]
	v_fma_f64 v[52:53], v[50:51], s[14:15], v[52:53]
	v_mul_f64 v[50:51], v[50:51], s[18:19]
	v_fma_f64 v[85:86], v[48:49], s[16:17], v[50:51]
	v_add_f64 v[48:49], v[36:37], v[52:53]
	v_add_f64 v[52:53], v[36:37], -v[52:53]
	v_fma_f64 v[36:37], v[134:135], s[16:17], v[118:119]
	v_add_f64 v[50:51], v[54:55], v[85:86]
	v_add_f64 v[54:55], v[54:55], -v[85:86]
	v_fma_f64 v[85:86], v[132:133], s[14:15], v[143:144]
	v_fma_f64 v[36:37], v[120:121], s[12:13], v[36:37]
	;; [unrolled: 1-line block ×7, first 2 shown]
	v_mul_f64 v[14:15], v[18:19], s[20:21]
	v_add_co_u32 v82, null, 0xc8, v112
	v_mul_u32_u24_e32 v4, 10, v82
	v_lshlrev_b32_e32 v114, 4, v4
	v_fma_f64 v[16:17], v[12:13], s[6:7], v[14:15]
	v_mul_f64 v[12:13], v[12:13], s[20:21]
	v_fma_f64 v[18:19], v[18:19], s[12:13], v[12:13]
	v_add_f64 v[12:13], v[36:37], v[16:17]
	v_add_f64 v[16:17], v[36:37], -v[16:17]
	v_add_f64 v[14:15], v[76:77], v[18:19]
	v_add_f64 v[18:19], v[76:77], -v[18:19]
	ds_write_b128 v114, v[0:3]
	ds_write_b128 v114, v[32:35] offset:16
	ds_write_b128 v114, v[28:31] offset:32
	;; [unrolled: 1-line block ×9, first 2 shown]
	v_and_b32_e32 v0, 0xff, v142
	s_waitcnt lgkmcnt(0)
	s_barrier
	buffer_gl0_inv
	v_mul_lo_u16 v0, 0xcd, v0
	v_lshrrev_b16 v83, 11, v0
	v_mul_lo_u16 v0, v83, 10
	v_sub_nc_u16 v0, v142, v0
	v_and_b32_e32 v140, 0xff, v0
	v_mad_u64_u32 v[4:5], null, 0x90, v140, s[10:11]
	global_load_dwordx4 v[8:11], v[4:5], off
	s_waitcnt vmcnt(0)
	buffer_store_dword v8, off, s[28:31], 0 offset:332 ; 4-byte Folded Spill
	buffer_store_dword v9, off, s[28:31], 0 offset:336 ; 4-byte Folded Spill
	buffer_store_dword v10, off, s[28:31], 0 offset:340 ; 4-byte Folded Spill
	buffer_store_dword v11, off, s[28:31], 0 offset:344 ; 4-byte Folded Spill
	ds_read_b128 v[0:3], v38 offset:6400
	s_waitcnt lgkmcnt(0)
	v_mul_f64 v[6:7], v[2:3], v[10:11]
	v_fma_f64 v[40:41], v[0:1], v[8:9], -v[6:7]
	v_mul_f64 v[0:1], v[0:1], v[10:11]
	v_fma_f64 v[50:51], v[2:3], v[8:9], v[0:1]
	global_load_dwordx4 v[8:11], v[4:5], off offset:16
	s_waitcnt vmcnt(0)
	buffer_store_dword v8, off, s[28:31], 0 offset:348 ; 4-byte Folded Spill
	buffer_store_dword v9, off, s[28:31], 0 offset:352 ; 4-byte Folded Spill
	buffer_store_dword v10, off, s[28:31], 0 offset:356 ; 4-byte Folded Spill
	buffer_store_dword v11, off, s[28:31], 0 offset:360 ; 4-byte Folded Spill
	ds_read_b128 v[0:3], v38 offset:12800
	s_waitcnt lgkmcnt(0)
	v_mul_f64 v[6:7], v[2:3], v[10:11]
	v_fma_f64 v[52:53], v[0:1], v[8:9], -v[6:7]
	v_mul_f64 v[0:1], v[0:1], v[10:11]
	v_fma_f64 v[54:55], v[2:3], v[8:9], v[0:1]
	global_load_dwordx4 v[8:11], v[4:5], off offset:32
	;; [unrolled: 12-line block ×5, first 2 shown]
	s_waitcnt vmcnt(0)
	buffer_store_dword v8, off, s[28:31], 0 offset:412 ; 4-byte Folded Spill
	buffer_store_dword v9, off, s[28:31], 0 offset:416 ; 4-byte Folded Spill
	buffer_store_dword v10, off, s[28:31], 0 offset:420 ; 4-byte Folded Spill
	buffer_store_dword v11, off, s[28:31], 0 offset:424 ; 4-byte Folded Spill
	ds_read_b128 v[0:3], v38 offset:38400
	s_waitcnt lgkmcnt(0)
	v_mul_f64 v[6:7], v[2:3], v[10:11]
	v_fma_f64 v[68:69], v[0:1], v[8:9], -v[6:7]
	v_mul_f64 v[0:1], v[0:1], v[10:11]
	v_add_f64 v[171:172], v[60:61], -v[68:69]
	v_fma_f64 v[70:71], v[2:3], v[8:9], v[0:1]
	global_load_dwordx4 v[8:11], v[4:5], off offset:96
	s_waitcnt vmcnt(0)
	buffer_store_dword v8, off, s[28:31], 0 offset:428 ; 4-byte Folded Spill
	buffer_store_dword v9, off, s[28:31], 0 offset:432 ; 4-byte Folded Spill
	buffer_store_dword v10, off, s[28:31], 0 offset:436 ; 4-byte Folded Spill
	buffer_store_dword v11, off, s[28:31], 0 offset:440 ; 4-byte Folded Spill
	ds_read_b128 v[0:3], v38 offset:44800
	v_add_f64 v[167:168], v[62:63], -v[70:71]
	s_waitcnt lgkmcnt(0)
	v_mul_f64 v[6:7], v[2:3], v[10:11]
	v_fma_f64 v[74:75], v[0:1], v[8:9], -v[6:7]
	v_mul_f64 v[0:1], v[0:1], v[10:11]
	v_add_f64 v[159:160], v[66:67], -v[74:75]
	v_fma_f64 v[72:73], v[2:3], v[8:9], v[0:1]
	global_load_dwordx4 v[8:11], v[4:5], off offset:112
	s_waitcnt vmcnt(0)
	buffer_store_dword v8, off, s[28:31], 0 offset:444 ; 4-byte Folded Spill
	buffer_store_dword v9, off, s[28:31], 0 offset:448 ; 4-byte Folded Spill
	buffer_store_dword v10, off, s[28:31], 0 offset:452 ; 4-byte Folded Spill
	buffer_store_dword v11, off, s[28:31], 0 offset:456 ; 4-byte Folded Spill
	ds_read_b128 v[0:3], v38 offset:51200
	v_add_f64 v[163:164], v[64:65], -v[72:73]
	;; [unrolled: 14-line block ×3, first 2 shown]
	s_waitcnt lgkmcnt(0)
	v_mul_f64 v[4:5], v[2:3], v[8:9]
	v_fma_f64 v[122:123], v[0:1], v[6:7], -v[4:5]
	v_mul_f64 v[0:1], v[0:1], v[8:9]
	v_add_f64 v[157:158], v[58:59], -v[122:123]
	v_fma_f64 v[120:121], v[2:3], v[6:7], v[0:1]
	v_mov_b32_e32 v0, 0xcccd
	v_mul_u32_u24_sdwa v0, v82, v0 dst_sel:DWORD dst_unused:UNUSED_PAD src0_sel:WORD_0 src1_sel:DWORD
	v_lshrrev_b32_e32 v141, 19, v0
	v_mul_lo_u16 v0, v141, 10
	v_sub_nc_u16 v143, v82, v0
	v_add_f64 v[161:162], v[56:57], -v[120:121]
	v_mul_lo_u16 v0, 0x90, v143
	v_and_b32_e32 v0, 0xffff, v0
	v_add_co_u32 v4, s24, s10, v0
	v_add_co_ci_u32_e64 v5, null, s11, 0, s24
	global_load_dwordx4 v[8:11], v[4:5], off
	s_waitcnt vmcnt(0)
	buffer_store_dword v8, off, s[28:31], 0 offset:476 ; 4-byte Folded Spill
	buffer_store_dword v9, off, s[28:31], 0 offset:480 ; 4-byte Folded Spill
	;; [unrolled: 1-line block ×4, first 2 shown]
	ds_read_b128 v[0:3], v38 offset:9600
	s_waitcnt lgkmcnt(0)
	v_mul_f64 v[6:7], v[2:3], v[10:11]
	v_fma_f64 v[12:13], v[0:1], v[8:9], -v[6:7]
	v_mul_f64 v[0:1], v[0:1], v[10:11]
	v_fma_f64 v[14:15], v[2:3], v[8:9], v[0:1]
	global_load_dwordx4 v[8:11], v[4:5], off offset:16
	s_waitcnt vmcnt(0)
	buffer_store_dword v8, off, s[28:31], 0 offset:492 ; 4-byte Folded Spill
	buffer_store_dword v9, off, s[28:31], 0 offset:496 ; 4-byte Folded Spill
	;; [unrolled: 1-line block ×4, first 2 shown]
	ds_read_b128 v[0:3], v38 offset:16000
	s_waitcnt lgkmcnt(0)
	v_mul_f64 v[6:7], v[2:3], v[10:11]
	v_fma_f64 v[16:17], v[0:1], v[8:9], -v[6:7]
	v_mul_f64 v[0:1], v[0:1], v[10:11]
	v_fma_f64 v[18:19], v[2:3], v[8:9], v[0:1]
	global_load_dwordx4 v[8:11], v[4:5], off offset:32
	s_waitcnt vmcnt(0)
	buffer_store_dword v8, off, s[28:31], 0 offset:508 ; 4-byte Folded Spill
	buffer_store_dword v9, off, s[28:31], 0 offset:512 ; 4-byte Folded Spill
	;; [unrolled: 1-line block ×4, first 2 shown]
	s_clause 0x3
	global_load_dwordx4 v[116:119], v[4:5], off offset:48
	global_load_dwordx4 v[107:110], v[4:5], off offset:64
	;; [unrolled: 1-line block ×4, first 2 shown]
	ds_read_b128 v[0:3], v38 offset:22400
	s_clause 0x1
	global_load_dwordx4 v[95:98], v[4:5], off offset:112
	global_load_dwordx4 v[91:94], v[4:5], off offset:128
	ds_read_b128 v[144:147], v38 offset:3200
	s_waitcnt lgkmcnt(1)
	v_mul_f64 v[6:7], v[2:3], v[10:11]
	v_fma_f64 v[22:23], v[0:1], v[8:9], -v[6:7]
	v_mul_f64 v[0:1], v[0:1], v[10:11]
	v_add_f64 v[85:86], v[12:13], v[22:23]
	v_fma_f64 v[20:21], v[2:3], v[8:9], v[0:1]
	ds_read_b128 v[0:3], v38 offset:28800
	s_waitcnt vmcnt(5) lgkmcnt(0)
	v_mul_f64 v[6:7], v[2:3], v[118:119]
	v_add_f64 v[87:88], v[14:15], v[20:21]
	v_fma_f64 v[24:25], v[0:1], v[116:117], -v[6:7]
	v_mul_f64 v[0:1], v[0:1], v[118:119]
	v_fma_f64 v[26:27], v[2:3], v[116:117], v[0:1]
	ds_read_b128 v[0:3], v38 offset:35200
	s_waitcnt vmcnt(4) lgkmcnt(0)
	v_mul_f64 v[6:7], v[2:3], v[109:110]
	v_fma_f64 v[30:31], v[0:1], v[107:108], -v[6:7]
	v_mul_f64 v[0:1], v[0:1], v[109:110]
	v_add_f64 v[85:86], v[85:86], v[30:31]
	v_fma_f64 v[28:29], v[2:3], v[107:108], v[0:1]
	ds_read_b128 v[0:3], v38 offset:41600
	s_waitcnt vmcnt(3) lgkmcnt(0)
	v_mul_f64 v[6:7], v[2:3], v[105:106]
	v_add_f64 v[87:88], v[87:88], v[28:29]
	v_fma_f64 v[32:33], v[0:1], v[103:104], -v[6:7]
	v_mul_f64 v[0:1], v[0:1], v[105:106]
	v_fma_f64 v[34:35], v[2:3], v[103:104], v[0:1]
	ds_read_b128 v[0:3], v38 offset:48000
	s_waitcnt vmcnt(2) lgkmcnt(0)
	v_mul_f64 v[6:7], v[2:3], v[101:102]
	v_fma_f64 v[80:81], v[0:1], v[99:100], -v[6:7]
	v_mul_f64 v[0:1], v[0:1], v[101:102]
	v_add_f64 v[85:86], v[85:86], v[80:81]
	v_fma_f64 v[36:37], v[2:3], v[99:100], v[0:1]
	ds_read_b128 v[0:3], v38 offset:54400
	s_waitcnt vmcnt(1) lgkmcnt(0)
	v_mul_f64 v[6:7], v[2:3], v[97:98]
	v_add_f64 v[87:88], v[87:88], v[36:37]
	v_fma_f64 v[42:43], v[0:1], v[95:96], -v[6:7]
	v_mul_f64 v[0:1], v[0:1], v[97:98]
	v_add_f64 v[6:7], v[50:51], v[56:57]
	v_fma_f64 v[44:45], v[2:3], v[95:96], v[0:1]
	ds_read_b128 v[0:3], v38 offset:60800
	v_add_f64 v[6:7], v[6:7], v[64:65]
	s_waitcnt vmcnt(0) lgkmcnt(0)
	v_mul_f64 v[4:5], v[2:3], v[93:94]
	v_add_f64 v[6:7], v[6:7], v[72:73]
	v_fma_f64 v[48:49], v[0:1], v[91:92], -v[4:5]
	v_mul_f64 v[0:1], v[0:1], v[93:94]
	v_add_f64 v[4:5], v[60:61], v[68:69]
	v_add_f64 v[10:11], v[6:7], v[120:121]
	;; [unrolled: 1-line block ×3, first 2 shown]
	v_fma_f64 v[46:47], v[2:3], v[91:92], v[0:1]
	ds_read_b128 v[0:3], v38
	s_waitcnt lgkmcnt(0)
	s_waitcnt_vscnt null, 0x0
	s_barrier
	buffer_gl0_inv
	v_fma_f64 v[124:125], v[4:5], -0.5, v[0:1]
	v_add_f64 v[4:5], v[52:53], v[76:77]
	v_add_f64 v[87:88], v[87:88], v[46:47]
	v_fma_f64 v[128:129], v[4:5], -0.5, v[0:1]
	v_add_f64 v[4:5], v[62:63], v[70:71]
	v_add_f64 v[0:1], v[0:1], v[52:53]
	;; [unrolled: 3-line block ×4, first 2 shown]
	v_add_f64 v[2:3], v[2:3], v[54:55]
	v_add_f64 v[4:5], v[4:5], v[66:67]
	;; [unrolled: 1-line block ×9, first 2 shown]
	v_add_f64 v[0:1], v[0:1], -v[8:9]
	v_add_f64 v[8:9], v[24:25], v[32:33]
	v_add_f64 v[6:7], v[2:3], v[10:11]
	v_add_f64 v[2:3], v[2:3], -v[10:11]
	v_add_f64 v[10:11], v[146:147], v[18:19]
	v_fma_f64 v[132:133], v[8:9], -0.5, v[144:145]
	v_add_f64 v[8:9], v[16:17], v[42:43]
	v_add_f64 v[10:11], v[10:11], v[26:27]
	v_fma_f64 v[134:135], v[8:9], -0.5, v[144:145]
	v_add_f64 v[8:9], v[26:27], v[34:35]
	v_add_f64 v[10:11], v[10:11], v[34:35]
	v_fma_f64 v[136:137], v[8:9], -0.5, v[146:147]
	v_add_f64 v[8:9], v[18:19], v[44:45]
	v_fma_f64 v[138:139], v[8:9], -0.5, v[146:147]
	v_add_f64 v[8:9], v[144:145], v[16:17]
	v_add_f64 v[146:147], v[10:11], v[44:45]
	;; [unrolled: 1-line block ×4, first 2 shown]
	v_add_f64 v[146:147], v[146:147], -v[87:88]
	v_add_f64 v[8:9], v[8:9], v[32:33]
	v_add_f64 v[144:145], v[8:9], v[42:43]
	;; [unrolled: 1-line block ×3, first 2 shown]
	v_add_f64 v[144:145], v[144:145], -v[85:86]
	v_mov_b32_e32 v85, 0x64
	v_mul_u32_u24_sdwa v83, v83, v85 dst_sel:DWORD dst_unused:UNUSED_PAD src0_sel:WORD_0 src1_sel:DWORD
	v_add_lshl_u32 v150, v83, v140, 4
	ds_write_b128 v150, v[4:7]
	ds_write_b128 v150, v[0:3] offset:800
	v_add_f64 v[0:1], v[52:53], -v[60:61]
	v_add_f64 v[2:3], v[76:77], -v[68:69]
	v_add_f64 v[52:53], v[60:61], -v[52:53]
	v_add_f64 v[60:61], v[68:69], -v[76:77]
	v_add_f64 v[68:69], v[74:75], -v[122:123]
	v_add_f64 v[76:77], v[44:45], -v[34:35]
	v_add_f64 v[85:86], v[0:1], v[2:3]
	v_add_f64 v[0:1], v[54:55], -v[62:63]
	v_add_f64 v[2:3], v[78:79], -v[70:71]
	v_add_f64 v[54:55], v[62:63], -v[54:55]
	v_add_f64 v[62:63], v[70:71], -v[78:79]
	v_add_f64 v[70:71], v[72:73], -v[120:121]
	v_add_f64 v[60:61], v[52:53], v[60:61]
	v_add_f64 v[87:88], v[0:1], v[2:3]
	v_add_f64 v[0:1], v[58:59], -v[66:67]
	v_add_f64 v[2:3], v[122:123], -v[74:75]
	v_add_f64 v[62:63], v[54:55], v[62:63]
	v_add_f64 v[148:149], v[0:1], v[2:3]
	v_add_f64 v[0:1], v[56:57], -v[64:65]
	v_add_f64 v[2:3], v[120:121], -v[72:73]
	v_add_f64 v[151:152], v[0:1], v[2:3]
	v_add_f64 v[0:1], v[66:67], v[74:75]
	v_add_f64 v[66:67], v[66:67], -v[58:59]
	v_add_f64 v[58:59], v[58:59], v[122:123]
	v_fma_f64 v[153:154], v[0:1], -0.5, v[40:41]
	v_add_f64 v[0:1], v[64:65], v[72:73]
	v_add_f64 v[64:65], v[64:65], -v[56:57]
	v_add_f64 v[56:57], v[56:57], v[120:121]
	v_fma_f64 v[40:41], v[58:59], -0.5, v[40:41]
	v_add_f64 v[58:59], v[66:67], v[68:69]
	v_fma_f64 v[2:3], v[161:162], s[14:15], v[153:154]
	v_fma_f64 v[155:156], v[0:1], -0.5, v[50:51]
	v_add_f64 v[64:65], v[64:65], v[70:71]
	v_fma_f64 v[72:73], v[56:57], -0.5, v[50:51]
	v_fma_f64 v[52:53], v[163:164], s[16:17], v[40:41]
	v_fma_f64 v[40:41], v[163:164], s[14:15], v[40:41]
	;; [unrolled: 1-line block ×8, first 2 shown]
	v_add_f64 v[155:156], v[26:27], -v[34:35]
	v_fma_f64 v[2:3], v[148:149], s[8:9], v[2:3]
	v_fma_f64 v[70:71], v[159:160], s[6:7], v[70:71]
	;; [unrolled: 1-line block ×7, first 2 shown]
	v_add_f64 v[159:160], v[24:25], -v[32:33]
	v_fma_f64 v[0:1], v[151:152], s[8:9], v[0:1]
	v_fma_f64 v[50:51], v[64:65], s[8:9], v[50:51]
	;; [unrolled: 1-line block ×3, first 2 shown]
	v_add_f64 v[157:158], v[16:17], -v[42:43]
	v_mul_f64 v[4:5], v[0:1], s[6:7]
	v_mul_f64 v[54:55], v[50:51], s[14:15]
	v_fma_f64 v[58:59], v[64:65], s[8:9], v[58:59]
	v_fma_f64 v[4:5], v[2:3], s[22:23], v[4:5]
	;; [unrolled: 1-line block ×3, first 2 shown]
	v_mul_f64 v[52:53], v[52:53], s[16:17]
	v_mul_f64 v[2:3], v[2:3], s[12:13]
	v_fma_f64 v[56:57], v[50:51], s[8:9], v[52:53]
	v_fma_f64 v[50:51], v[167:168], s[16:17], v[128:129]
	;; [unrolled: 1-line block ×14, first 2 shown]
	v_add_f64 v[50:51], v[66:67], v[54:55]
	v_add_f64 v[54:55], v[66:67], -v[54:55]
	v_fma_f64 v[66:67], v[167:168], s[14:15], v[128:129]
	v_add_f64 v[52:53], v[68:69], v[56:57]
	v_add_f64 v[56:57], v[68:69], -v[56:57]
	v_add_f64 v[128:129], v[22:23], -v[48:49]
	v_add_f64 v[0:1], v[173:174], v[4:5]
	v_add_f64 v[2:3], v[175:176], v[6:7]
	v_add_f64 v[4:5], v[173:174], -v[4:5]
	v_add_f64 v[6:7], v[175:176], -v[6:7]
	v_fma_f64 v[66:67], v[165:166], s[12:13], v[66:67]
	v_fma_f64 v[66:67], v[60:61], s[8:9], v[66:67]
	;; [unrolled: 1-line block ×3, first 2 shown]
	v_add_f64 v[130:131], v[30:31], -v[80:81]
	v_fma_f64 v[60:61], v[169:170], s[6:7], v[60:61]
	v_fma_f64 v[68:69], v[62:63], s[8:9], v[60:61]
	v_mul_f64 v[60:61], v[40:41], s[18:19]
	v_fma_f64 v[62:63], v[58:59], s[14:15], v[60:61]
	v_mul_f64 v[58:59], v[58:59], s[18:19]
	v_fma_f64 v[40:41], v[40:41], s[16:17], v[58:59]
	v_add_f64 v[58:59], v[66:67], v[62:63]
	v_add_f64 v[62:63], v[66:67], -v[62:63]
	v_fma_f64 v[66:67], v[165:166], s[16:17], v[124:125]
	v_add_f64 v[60:61], v[68:69], v[40:41]
	v_add_f64 v[64:65], v[68:69], -v[40:41]
	v_fma_f64 v[40:41], v[161:162], s[16:17], v[153:154]
	v_fma_f64 v[68:69], v[169:170], s[14:15], v[126:127]
	;; [unrolled: 1-line block ×3, first 2 shown]
	v_add_f64 v[153:154], v[18:19], -v[44:45]
	v_fma_f64 v[40:41], v[163:164], s[12:13], v[40:41]
	v_fma_f64 v[68:69], v[171:172], s[6:7], v[68:69]
	;; [unrolled: 1-line block ×4, first 2 shown]
	v_add_f64 v[151:152], v[28:29], -v[36:37]
	v_fma_f64 v[40:41], v[148:149], s[8:9], v[40:41]
	v_fma_f64 v[74:75], v[87:88], s[8:9], v[68:69]
	v_add_f64 v[148:149], v[20:21], -v[46:47]
	v_mul_f64 v[68:69], v[40:41], s[20:21]
	v_fma_f64 v[70:71], v[66:67], s[6:7], v[68:69]
	v_mul_f64 v[66:67], v[66:67], s[20:21]
	v_fma_f64 v[40:41], v[40:41], s[12:13], v[66:67]
	v_add_f64 v[66:67], v[72:73], v[70:71]
	v_add_f64 v[70:71], v[72:73], -v[70:71]
	v_add_f64 v[68:69], v[74:75], v[40:41]
	v_add_f64 v[72:73], v[74:75], -v[40:41]
	v_add_f64 v[40:41], v[16:17], -v[24:25]
	;; [unrolled: 1-line block ×6, first 2 shown]
	ds_write_b128 v150, v[0:3] offset:160
	ds_write_b128 v150, v[50:53] offset:320
	;; [unrolled: 1-line block ×8, first 2 shown]
	v_mad_u16 v0, 0x64, v141, v143
	v_add_f64 v[40:41], v[40:41], v[74:75]
	v_add_f64 v[74:75], v[18:19], -v[26:27]
	v_add_f64 v[18:19], v[26:27], -v[18:19]
	v_add_f64 v[26:27], v[34:35], -v[44:45]
	v_add_f64 v[34:35], v[36:37], -v[46:47]
	v_add_f64 v[24:25], v[16:17], v[24:25]
	v_add_f64 v[78:79], v[74:75], v[76:77]
	v_add_f64 v[74:75], v[22:23], -v[30:31]
	v_add_f64 v[76:77], v[48:49], -v[80:81]
	v_add_f64 v[26:27], v[18:19], v[26:27]
	v_add_f64 v[85:86], v[74:75], v[76:77]
	v_add_f64 v[74:75], v[20:21], -v[28:29]
	v_add_f64 v[76:77], v[46:47], -v[36:37]
	v_add_f64 v[87:88], v[74:75], v[76:77]
	v_add_f64 v[74:75], v[30:31], v[80:81]
	v_add_f64 v[30:31], v[30:31], -v[22:23]
	v_add_f64 v[22:23], v[22:23], v[48:49]
	v_fma_f64 v[124:125], v[74:75], -0.5, v[12:13]
	v_add_f64 v[74:75], v[28:29], v[36:37]
	v_add_f64 v[28:29], v[28:29], -v[20:21]
	v_add_f64 v[20:21], v[20:21], v[46:47]
	v_fma_f64 v[22:23], v[22:23], -0.5, v[12:13]
	v_add_f64 v[30:31], v[30:31], v[32:33]
	v_fma_f64 v[76:77], v[148:149], s[14:15], v[124:125]
	v_fma_f64 v[126:127], v[74:75], -0.5, v[14:15]
	v_add_f64 v[28:29], v[28:29], v[34:35]
	v_fma_f64 v[20:21], v[20:21], -0.5, v[14:15]
	v_fma_f64 v[14:15], v[151:152], s[16:17], v[22:23]
	v_fma_f64 v[22:23], v[151:152], s[14:15], v[22:23]
	;; [unrolled: 1-line block ×17, first 2 shown]
	v_mul_f64 v[28:29], v[22:23], s[18:19]
	v_mul_f64 v[120:121], v[74:75], s[6:7]
	;; [unrolled: 1-line block ×3, first 2 shown]
	v_fma_f64 v[28:29], v[20:21], s[14:15], v[28:29]
	v_mul_f64 v[20:21], v[20:21], s[18:19]
	v_fma_f64 v[120:121], v[76:77], s[22:23], v[120:121]
	v_mul_f64 v[76:77], v[76:77], s[12:13]
	;; [unrolled: 2-line block ×3, first 2 shown]
	v_fma_f64 v[30:31], v[22:23], s[16:17], v[20:21]
	v_fma_f64 v[122:123], v[74:75], s[22:23], v[76:77]
	;; [unrolled: 1-line block ×15, first 2 shown]
	v_add_f64 v[74:75], v[161:162], v[120:121]
	v_add_f64 v[120:121], v[161:162], -v[120:121]
	v_add_f64 v[12:13], v[32:33], v[16:17]
	v_add_f64 v[16:17], v[32:33], -v[16:17]
	v_fma_f64 v[32:33], v[155:156], s[14:15], v[134:135]
	v_add_f64 v[14:15], v[34:35], v[18:19]
	v_add_f64 v[18:19], v[34:35], -v[18:19]
	v_fma_f64 v[34:35], v[128:129], s[14:15], v[126:127]
	v_add_f64 v[76:77], v[163:164], v[122:123]
	v_add_f64 v[122:123], v[163:164], -v[122:123]
	v_lshlrev_b32_sdwa v128, v39, v0 dst_sel:DWORD dst_unused:UNUSED_PAD src0_sel:DWORD src1_sel:WORD_0
	v_add_nc_u32_e32 v0, 0xffffff9c, v112
	v_fma_f64 v[32:33], v[153:154], s[12:13], v[32:33]
	v_fma_f64 v[34:35], v[130:131], s[6:7], v[34:35]
	;; [unrolled: 1-line block ×4, first 2 shown]
	v_add_f64 v[20:21], v[24:25], v[28:29]
	v_fma_f64 v[32:33], v[157:158], s[6:7], v[32:33]
	v_add_f64 v[24:25], v[24:25], -v[28:29]
	v_fma_f64 v[28:29], v[148:149], s[16:17], v[124:125]
	v_fma_f64 v[26:27], v[26:27], s[8:9], v[32:33]
	;; [unrolled: 1-line block ×4, first 2 shown]
	v_add_f64 v[22:23], v[26:27], v[30:31]
	v_add_f64 v[26:27], v[26:27], -v[30:31]
	v_fma_f64 v[30:31], v[153:154], s[16:17], v[132:133]
	v_fma_f64 v[32:33], v[159:160], s[6:7], v[32:33]
	;; [unrolled: 1-line block ×7, first 2 shown]
	v_mul_f64 v[32:33], v[28:29], s[20:21]
	v_fma_f64 v[32:33], v[30:31], s[6:7], v[32:33]
	v_mul_f64 v[30:31], v[30:31], s[20:21]
	v_fma_f64 v[34:35], v[28:29], s[12:13], v[30:31]
	v_add_f64 v[28:29], v[36:37], v[32:33]
	v_add_f64 v[32:33], v[36:37], -v[32:33]
	v_add_f64 v[30:31], v[40:41], v[34:35]
	v_add_f64 v[34:35], v[40:41], -v[34:35]
	ds_write_b128 v128, v[8:11]
	ds_write_b128 v128, v[74:77] offset:160
	ds_write_b128 v128, v[12:15] offset:320
	;; [unrolled: 1-line block ×9, first 2 shown]
	v_cndmask_b32_e32 v144, v0, v112, vcc_lo
	buffer_store_dword v112, off, s[28:31], 0 offset:328 ; 4-byte Folded Spill
	s_waitcnt lgkmcnt(0)
	s_waitcnt_vscnt null, 0x0
	s_barrier
	buffer_gl0_inv
	v_mul_i32_i24_e32 v0, 0x90, v144
	v_mul_hi_i32_i24_e32 v1, 0x90, v144
	v_add_co_u32 v4, vcc_lo, s10, v0
	v_add_co_ci_u32_e32 v5, vcc_lo, s11, v1, vcc_lo
	v_cmp_lt_u16_e32 vcc_lo, 0x63, v142
	global_load_dwordx4 v[8:11], v[4:5], off offset:1440
	s_waitcnt vmcnt(0)
	buffer_store_dword v8, off, s[28:31], 0 offset:524 ; 4-byte Folded Spill
	buffer_store_dword v9, off, s[28:31], 0 offset:528 ; 4-byte Folded Spill
	;; [unrolled: 1-line block ×4, first 2 shown]
	ds_read_b128 v[0:3], v38 offset:6400
	s_waitcnt lgkmcnt(0)
	v_mul_f64 v[6:7], v[2:3], v[10:11]
	v_fma_f64 v[44:45], v[0:1], v[8:9], -v[6:7]
	v_mul_f64 v[0:1], v[0:1], v[10:11]
	v_fma_f64 v[54:55], v[2:3], v[8:9], v[0:1]
	global_load_dwordx4 v[8:11], v[4:5], off offset:1456
	s_waitcnt vmcnt(0)
	buffer_store_dword v8, off, s[28:31], 0 offset:540 ; 4-byte Folded Spill
	buffer_store_dword v9, off, s[28:31], 0 offset:544 ; 4-byte Folded Spill
	;; [unrolled: 1-line block ×4, first 2 shown]
	ds_read_b128 v[0:3], v38 offset:12800
	s_waitcnt lgkmcnt(0)
	v_mul_f64 v[6:7], v[2:3], v[10:11]
	v_fma_f64 v[56:57], v[0:1], v[8:9], -v[6:7]
	v_mul_f64 v[0:1], v[0:1], v[10:11]
	v_fma_f64 v[58:59], v[2:3], v[8:9], v[0:1]
	global_load_dwordx4 v[8:11], v[4:5], off offset:1472
	s_waitcnt vmcnt(0)
	buffer_store_dword v8, off, s[28:31], 0 offset:556 ; 4-byte Folded Spill
	buffer_store_dword v9, off, s[28:31], 0 offset:560 ; 4-byte Folded Spill
	;; [unrolled: 1-line block ×4, first 2 shown]
	s_clause 0x3
	global_load_dwordx4 v[164:167], v[4:5], off offset:1488
	global_load_dwordx4 v[168:171], v[4:5], off offset:1504
	;; [unrolled: 1-line block ×4, first 2 shown]
	ds_read_b128 v[0:3], v38 offset:19200
	s_clause 0x1
	global_load_dwordx4 v[180:183], v[4:5], off offset:1552
	global_load_dwordx4 v[184:187], v[4:5], off offset:1568
	s_waitcnt lgkmcnt(0)
	v_mul_f64 v[6:7], v[2:3], v[10:11]
	v_fma_f64 v[62:63], v[0:1], v[8:9], -v[6:7]
	v_mul_f64 v[0:1], v[0:1], v[10:11]
	v_fma_f64 v[60:61], v[2:3], v[8:9], v[0:1]
	ds_read_b128 v[0:3], v38 offset:25600
	s_waitcnt vmcnt(5) lgkmcnt(0)
	v_mul_f64 v[6:7], v[2:3], v[166:167]
	v_fma_f64 v[64:65], v[0:1], v[164:165], -v[6:7]
	v_mul_f64 v[0:1], v[0:1], v[166:167]
	v_fma_f64 v[66:67], v[2:3], v[164:165], v[0:1]
	ds_read_b128 v[0:3], v38 offset:32000
	s_waitcnt vmcnt(4) lgkmcnt(0)
	;; [unrolled: 6-line block ×3, first 2 shown]
	v_mul_f64 v[6:7], v[2:3], v[174:175]
	v_fma_f64 v[72:73], v[0:1], v[172:173], -v[6:7]
	v_mul_f64 v[0:1], v[0:1], v[174:175]
	v_add_f64 v[244:245], v[64:65], -v[72:73]
	v_fma_f64 v[74:75], v[2:3], v[172:173], v[0:1]
	ds_read_b128 v[0:3], v38 offset:44800
	s_waitcnt vmcnt(2) lgkmcnt(0)
	v_mul_f64 v[6:7], v[2:3], v[178:179]
	v_add_f64 v[240:241], v[66:67], -v[74:75]
	v_fma_f64 v[78:79], v[0:1], v[176:177], -v[6:7]
	v_mul_f64 v[0:1], v[0:1], v[178:179]
	v_add_f64 v[232:233], v[70:71], -v[78:79]
	v_fma_f64 v[76:77], v[2:3], v[176:177], v[0:1]
	ds_read_b128 v[0:3], v38 offset:51200
	s_waitcnt vmcnt(1) lgkmcnt(0)
	v_mul_f64 v[6:7], v[2:3], v[182:183]
	v_add_f64 v[236:237], v[68:69], -v[76:77]
	;; [unrolled: 8-line block ×3, first 2 shown]
	v_fma_f64 v[126:127], v[0:1], v[184:185], -v[4:5]
	v_mul_f64 v[0:1], v[0:1], v[186:187]
	v_add_f64 v[230:231], v[62:63], -v[126:127]
	v_fma_f64 v[124:125], v[2:3], v[184:185], v[0:1]
	v_mov_b32_e32 v0, 0x147b
	v_lshrrev_b16 v1, 2, v82
	v_mul_u32_u24_sdwa v0, v1, v0 dst_sel:DWORD dst_unused:UNUSED_PAD src0_sel:WORD_0 src1_sel:DWORD
	v_lshrrev_b32_e32 v129, 17, v0
	v_mul_lo_u16 v0, 0x64, v129
	v_sub_nc_u16 v143, v82, v0
	v_add_f64 v[234:235], v[60:61], -v[124:125]
	v_mul_lo_u16 v0, 0x90, v143
	v_and_b32_e32 v0, 0xffff, v0
	v_add_co_u32 v4, s24, s10, v0
	v_add_co_ci_u32_e64 v5, null, s11, 0, s24
	ds_read_b128 v[0:3], v38 offset:9600
	s_clause 0x8
	global_load_dwordx4 v[188:191], v[4:5], off offset:1440
	global_load_dwordx4 v[192:195], v[4:5], off offset:1456
	;; [unrolled: 1-line block ×9, first 2 shown]
	s_waitcnt vmcnt(8) lgkmcnt(0)
	v_mul_f64 v[6:7], v[2:3], v[190:191]
	v_fma_f64 v[16:17], v[0:1], v[188:189], -v[6:7]
	v_mul_f64 v[0:1], v[0:1], v[190:191]
	v_fma_f64 v[18:19], v[2:3], v[188:189], v[0:1]
	ds_read_b128 v[0:3], v38 offset:16000
	s_waitcnt vmcnt(7) lgkmcnt(0)
	v_mul_f64 v[6:7], v[2:3], v[194:195]
	v_fma_f64 v[20:21], v[0:1], v[192:193], -v[6:7]
	v_mul_f64 v[0:1], v[0:1], v[194:195]
	v_fma_f64 v[22:23], v[2:3], v[192:193], v[0:1]
	ds_read_b128 v[0:3], v38 offset:22400
	;; [unrolled: 6-line block ×3, first 2 shown]
	s_waitcnt vmcnt(5) lgkmcnt(0)
	v_mul_f64 v[6:7], v[2:3], v[202:203]
	v_add_f64 v[14:15], v[18:19], v[24:25]
	v_fma_f64 v[28:29], v[0:1], v[200:201], -v[6:7]
	v_mul_f64 v[0:1], v[0:1], v[202:203]
	v_fma_f64 v[30:31], v[2:3], v[200:201], v[0:1]
	ds_read_b128 v[0:3], v38 offset:35200
	s_waitcnt vmcnt(4) lgkmcnt(0)
	v_mul_f64 v[6:7], v[2:3], v[206:207]
	v_fma_f64 v[34:35], v[0:1], v[204:205], -v[6:7]
	v_mul_f64 v[0:1], v[0:1], v[206:207]
	v_fma_f64 v[32:33], v[2:3], v[204:205], v[0:1]
	ds_read_b128 v[0:3], v38 offset:41600
	s_waitcnt vmcnt(3) lgkmcnt(0)
	v_mul_f64 v[6:7], v[2:3], v[210:211]
	v_add_f64 v[14:15], v[14:15], v[32:33]
	v_fma_f64 v[36:37], v[0:1], v[208:209], -v[6:7]
	v_mul_f64 v[0:1], v[0:1], v[210:211]
	v_fma_f64 v[80:81], v[2:3], v[208:209], v[0:1]
	ds_read_b128 v[0:3], v38 offset:48000
	s_waitcnt vmcnt(2) lgkmcnt(0)
	v_mul_f64 v[6:7], v[2:3], v[214:215]
	v_fma_f64 v[42:43], v[0:1], v[212:213], -v[6:7]
	v_mul_f64 v[0:1], v[0:1], v[214:215]
	v_fma_f64 v[40:41], v[2:3], v[212:213], v[0:1]
	ds_read_b128 v[0:3], v38 offset:54400
	s_waitcnt vmcnt(1) lgkmcnt(0)
	v_mul_f64 v[6:7], v[2:3], v[218:219]
	v_add_f64 v[14:15], v[14:15], v[40:41]
	v_fma_f64 v[46:47], v[0:1], v[216:217], -v[6:7]
	v_mul_f64 v[0:1], v[0:1], v[218:219]
	v_add_f64 v[6:7], v[54:55], v[60:61]
	v_fma_f64 v[48:49], v[2:3], v[216:217], v[0:1]
	ds_read_b128 v[0:3], v38 offset:60800
	v_add_f64 v[6:7], v[6:7], v[68:69]
	s_waitcnt vmcnt(0) lgkmcnt(0)
	v_mul_f64 v[4:5], v[2:3], v[222:223]
	v_add_f64 v[6:7], v[6:7], v[76:77]
	v_fma_f64 v[52:53], v[0:1], v[220:221], -v[4:5]
	v_mul_f64 v[0:1], v[0:1], v[222:223]
	v_add_f64 v[4:5], v[64:65], v[72:73]
	v_add_f64 v[10:11], v[6:7], v[124:125]
	v_fma_f64 v[50:51], v[2:3], v[220:221], v[0:1]
	ds_read_b128 v[0:3], v38
	s_waitcnt lgkmcnt(0)
	v_fma_f64 v[82:83], v[4:5], -0.5, v[0:1]
	v_add_f64 v[4:5], v[56:57], v[120:121]
	v_add_f64 v[14:15], v[14:15], v[50:51]
	v_fma_f64 v[132:133], v[4:5], -0.5, v[0:1]
	v_add_f64 v[4:5], v[66:67], v[74:75]
	v_add_f64 v[0:1], v[0:1], v[56:57]
	v_fma_f64 v[130:131], v[4:5], -0.5, v[2:3]
	v_add_f64 v[4:5], v[58:59], v[122:123]
	v_add_f64 v[0:1], v[0:1], v[64:65]
	v_fma_f64 v[134:135], v[4:5], -0.5, v[2:3]
	v_add_f64 v[4:5], v[44:45], v[62:63]
	v_add_f64 v[2:3], v[2:3], v[58:59]
	v_add_f64 v[0:1], v[0:1], v[72:73]
	v_add_f64 v[4:5], v[4:5], v[70:71]
	;; [unrolled: 1-line block ×9, first 2 shown]
	v_add_f64 v[0:1], v[0:1], -v[8:9]
	v_add_f64 v[8:9], v[28:29], v[36:37]
	v_add_f64 v[6:7], v[2:3], v[10:11]
	v_add_f64 v[2:3], v[2:3], -v[10:11]
	ds_read_b128 v[10:13], v38 offset:3200
	s_waitcnt lgkmcnt(0)
	s_waitcnt_vscnt null, 0x0
	s_barrier
	buffer_gl0_inv
	v_fma_f64 v[136:137], v[8:9], -0.5, v[10:11]
	v_add_f64 v[8:9], v[20:21], v[46:47]
	v_fma_f64 v[138:139], v[8:9], -0.5, v[10:11]
	v_add_f64 v[8:9], v[30:31], v[80:81]
	;; [unrolled: 2-line block ×4, first 2 shown]
	v_add_f64 v[10:11], v[12:13], v[22:23]
	v_add_f64 v[12:13], v[16:17], v[26:27]
	;; [unrolled: 1-line block ×13, first 2 shown]
	v_add_f64 v[12:13], v[87:88], -v[12:13]
	v_cndmask_b32_e64 v87, 0, 0x3e8, vcc_lo
	v_add_f64 v[14:15], v[145:146], -v[14:15]
	v_add_lshl_u32 v149, v144, v87, 4
	ds_write_b128 v149, v[4:7]
	ds_write_b128 v149, v[0:3] offset:8000
	v_add_f64 v[0:1], v[56:57], -v[64:65]
	v_add_f64 v[2:3], v[120:121], -v[72:73]
	;; [unrolled: 1-line block ×6, first 2 shown]
	v_add_f64 v[87:88], v[0:1], v[2:3]
	v_add_f64 v[0:1], v[58:59], -v[66:67]
	v_add_f64 v[2:3], v[122:123], -v[74:75]
	;; [unrolled: 1-line block ×5, first 2 shown]
	v_add_f64 v[64:65], v[56:57], v[64:65]
	v_add_f64 v[144:145], v[0:1], v[2:3]
	v_add_f64 v[0:1], v[62:63], -v[70:71]
	v_add_f64 v[2:3], v[126:127], -v[78:79]
	v_add_f64 v[66:67], v[58:59], v[66:67]
	v_add_f64 v[146:147], v[0:1], v[2:3]
	v_add_f64 v[0:1], v[60:61], -v[68:69]
	v_add_f64 v[2:3], v[124:125], -v[76:77]
	v_add_f64 v[224:225], v[0:1], v[2:3]
	v_add_f64 v[0:1], v[70:71], v[78:79]
	v_add_f64 v[70:71], v[70:71], -v[62:63]
	v_add_f64 v[62:63], v[62:63], v[126:127]
	v_fma_f64 v[226:227], v[0:1], -0.5, v[44:45]
	v_add_f64 v[0:1], v[68:69], v[76:77]
	v_add_f64 v[68:69], v[68:69], -v[60:61]
	v_add_f64 v[60:61], v[60:61], v[124:125]
	v_fma_f64 v[44:45], v[62:63], -0.5, v[44:45]
	v_add_f64 v[62:63], v[70:71], v[72:73]
	v_fma_f64 v[2:3], v[234:235], s[14:15], v[226:227]
	v_fma_f64 v[228:229], v[0:1], -0.5, v[54:55]
	v_add_f64 v[68:69], v[68:69], v[74:75]
	v_fma_f64 v[76:77], v[60:61], -0.5, v[54:55]
	v_fma_f64 v[56:57], v[236:237], s[16:17], v[44:45]
	v_fma_f64 v[44:45], v[236:237], s[14:15], v[44:45]
	;; [unrolled: 1-line block ×8, first 2 shown]
	v_add_f64 v[228:229], v[30:31], -v[80:81]
	v_fma_f64 v[2:3], v[146:147], s[8:9], v[2:3]
	v_fma_f64 v[0:1], v[232:233], s[12:13], v[0:1]
	;; [unrolled: 1-line block ×7, first 2 shown]
	v_add_f64 v[232:233], v[28:29], -v[36:37]
	v_fma_f64 v[0:1], v[224:225], s[8:9], v[0:1]
	v_fma_f64 v[54:55], v[68:69], s[8:9], v[54:55]
	v_fma_f64 v[62:63], v[230:231], s[6:7], v[62:63]
	v_add_f64 v[230:231], v[20:21], -v[46:47]
	v_mul_f64 v[4:5], v[0:1], s[6:7]
	v_mul_f64 v[58:59], v[54:55], s[14:15]
	v_fma_f64 v[62:63], v[68:69], s[8:9], v[62:63]
	v_fma_f64 v[4:5], v[2:3], s[22:23], v[4:5]
	v_mul_f64 v[2:3], v[2:3], s[12:13]
	v_fma_f64 v[58:59], v[56:57], s[8:9], v[58:59]
	v_mul_f64 v[56:57], v[56:57], s[16:17]
	v_fma_f64 v[6:7], v[0:1], s[22:23], v[2:3]
	v_fma_f64 v[0:1], v[238:239], s[14:15], v[82:83]
	;; [unrolled: 1-line block ×14, first 2 shown]
	v_add_f64 v[0:1], v[246:247], v[4:5]
	v_add_f64 v[4:5], v[246:247], -v[4:5]
	v_add_f64 v[54:55], v[70:71], v[58:59]
	v_add_f64 v[58:59], v[70:71], -v[58:59]
	v_fma_f64 v[70:71], v[240:241], s[14:15], v[132:133]
	v_add_f64 v[56:57], v[72:73], v[60:61]
	v_add_f64 v[60:61], v[72:73], -v[60:61]
	v_add_f64 v[2:3], v[248:249], v[6:7]
	v_add_f64 v[6:7], v[248:249], -v[6:7]
	v_fma_f64 v[70:71], v[238:239], s[12:13], v[70:71]
	v_fma_f64 v[70:71], v[64:65], s[8:9], v[70:71]
	v_fma_f64 v[64:65], v[244:245], s[16:17], v[134:135]
	v_add_f64 v[134:135], v[26:27], -v[52:53]
	v_fma_f64 v[64:65], v[242:243], s[6:7], v[64:65]
	v_fma_f64 v[72:73], v[66:67], s[8:9], v[64:65]
	v_mul_f64 v[64:65], v[44:45], s[18:19]
	v_fma_f64 v[66:67], v[62:63], s[14:15], v[64:65]
	v_mul_f64 v[62:63], v[62:63], s[18:19]
	v_fma_f64 v[44:45], v[44:45], s[16:17], v[62:63]
	v_add_f64 v[62:63], v[70:71], v[66:67]
	v_add_f64 v[66:67], v[70:71], -v[66:67]
	v_fma_f64 v[70:71], v[238:239], s[16:17], v[82:83]
	v_add_f64 v[82:83], v[48:49], -v[80:81]
	v_add_f64 v[64:65], v[72:73], v[44:45]
	v_add_f64 v[68:69], v[72:73], -v[44:45]
	v_fma_f64 v[44:45], v[234:235], s[16:17], v[226:227]
	v_fma_f64 v[72:73], v[242:243], s[14:15], v[130:131]
	;; [unrolled: 1-line block ×3, first 2 shown]
	v_add_f64 v[226:227], v[22:23], -v[48:49]
	v_fma_f64 v[44:45], v[236:237], s[12:13], v[44:45]
	v_fma_f64 v[72:73], v[244:245], s[6:7], v[72:73]
	;; [unrolled: 1-line block ×4, first 2 shown]
	v_add_f64 v[87:88], v[52:53], -v[42:43]
	v_add_f64 v[224:225], v[32:33], -v[40:41]
	v_fma_f64 v[44:45], v[146:147], s[8:9], v[44:45]
	v_fma_f64 v[78:79], v[144:145], s[8:9], v[72:73]
	v_add_f64 v[146:147], v[24:25], -v[50:51]
	v_add_f64 v[144:145], v[34:35], -v[42:43]
	v_mul_f64 v[72:73], v[44:45], s[20:21]
	v_fma_f64 v[74:75], v[70:71], s[6:7], v[72:73]
	v_mul_f64 v[70:71], v[70:71], s[20:21]
	v_fma_f64 v[44:45], v[44:45], s[12:13], v[70:71]
	v_add_f64 v[70:71], v[76:77], v[74:75]
	v_add_f64 v[74:75], v[76:77], -v[74:75]
	v_add_f64 v[72:73], v[78:79], v[44:45]
	v_add_f64 v[76:77], v[78:79], -v[44:45]
	v_add_f64 v[44:45], v[20:21], -v[28:29]
	;; [unrolled: 1-line block ×6, first 2 shown]
	ds_write_b128 v149, v[0:3] offset:1600
	ds_write_b128 v149, v[54:57] offset:3200
	;; [unrolled: 1-line block ×8, first 2 shown]
	v_mad_u64_u32 v[58:59], null, v112, 48, s[10:11]
	v_mad_u16 v0, 0x3e8, v129, v143
	v_add_f64 v[44:45], v[44:45], v[78:79]
	v_add_f64 v[78:79], v[22:23], -v[30:31]
	v_add_f64 v[28:29], v[20:21], v[28:29]
	v_add_f64 v[22:23], v[30:31], -v[22:23]
	v_add_f64 v[30:31], v[80:81], -v[48:49]
	v_lshlrev_b32_sdwa v151, v39, v0 dst_sel:DWORD dst_unused:UNUSED_PAD src0_sel:DWORD src1_sel:WORD_0
	v_add_co_u32 v0, vcc_lo, 0x3800, v58
	v_add_co_ci_u32_e32 v1, vcc_lo, 0, v59, vcc_lo
	v_add_f64 v[78:79], v[78:79], v[82:83]
	v_add_f64 v[82:83], v[26:27], -v[34:35]
	v_add_f64 v[30:31], v[22:23], v[30:31]
	v_add_f64 v[82:83], v[82:83], v[87:88]
	v_add_f64 v[87:88], v[24:25], -v[32:33]
	v_add_f64 v[87:88], v[87:88], v[120:121]
	;; [unrolled: 3-line block ×3, first 2 shown]
	v_fma_f64 v[130:131], v[120:121], -0.5, v[16:17]
	v_add_f64 v[120:121], v[32:33], v[40:41]
	v_add_f64 v[32:33], v[32:33], -v[24:25]
	v_add_f64 v[24:25], v[24:25], v[50:51]
	v_add_f64 v[40:41], v[40:41], -v[50:51]
	v_fma_f64 v[26:27], v[26:27], -0.5, v[16:17]
	v_add_f64 v[34:35], v[34:35], v[36:37]
	v_fma_f64 v[122:123], v[146:147], s[14:15], v[130:131]
	v_fma_f64 v[132:133], v[120:121], -0.5, v[18:19]
	v_fma_f64 v[24:25], v[24:25], -0.5, v[18:19]
	v_add_f64 v[32:33], v[32:33], v[40:41]
	v_fma_f64 v[18:19], v[224:225], s[16:17], v[26:27]
	v_fma_f64 v[26:27], v[224:225], s[14:15], v[26:27]
	;; [unrolled: 1-line block ×17, first 2 shown]
	v_mul_f64 v[32:33], v[26:27], s[18:19]
	v_mul_f64 v[124:125], v[120:121], s[6:7]
	;; [unrolled: 1-line block ×3, first 2 shown]
	v_fma_f64 v[32:33], v[24:25], s[14:15], v[32:33]
	v_mul_f64 v[24:25], v[24:25], s[18:19]
	v_fma_f64 v[124:125], v[122:123], s[22:23], v[124:125]
	v_mul_f64 v[122:123], v[122:123], s[12:13]
	;; [unrolled: 2-line block ×3, first 2 shown]
	v_fma_f64 v[34:35], v[26:27], s[16:17], v[24:25]
	v_fma_f64 v[126:127], v[120:121], s[22:23], v[122:123]
	;; [unrolled: 1-line block ×15, first 2 shown]
	v_add_f64 v[120:121], v[234:235], v[124:125]
	v_add_f64 v[124:125], v[234:235], -v[124:125]
	v_add_f64 v[16:17], v[36:37], v[20:21]
	v_add_f64 v[20:21], v[36:37], -v[20:21]
	v_fma_f64 v[36:37], v[228:229], s[14:15], v[138:139]
	v_add_f64 v[18:19], v[40:41], v[22:23]
	v_add_f64 v[22:23], v[40:41], -v[22:23]
	v_fma_f64 v[40:41], v[134:135], s[14:15], v[132:133]
	;; [unrolled: 3-line block ×3, first 2 shown]
	v_fma_f64 v[40:41], v[144:145], s[6:7], v[40:41]
	v_fma_f64 v[28:29], v[28:29], s[8:9], v[36:37]
	;; [unrolled: 1-line block ×3, first 2 shown]
	v_add_f64 v[24:25], v[28:29], v[32:33]
	v_fma_f64 v[36:37], v[230:231], s[6:7], v[36:37]
	v_add_f64 v[28:29], v[28:29], -v[32:33]
	v_fma_f64 v[32:33], v[146:147], s[16:17], v[130:131]
	v_fma_f64 v[30:31], v[30:31], s[8:9], v[36:37]
	;; [unrolled: 1-line block ×4, first 2 shown]
	v_add_f64 v[26:27], v[30:31], v[34:35]
	v_add_f64 v[30:31], v[30:31], -v[34:35]
	v_fma_f64 v[34:35], v[226:227], s[16:17], v[136:137]
	v_fma_f64 v[32:33], v[82:83], s[8:9], v[32:33]
	;; [unrolled: 1-line block ×7, first 2 shown]
	v_mul_f64 v[40:41], v[32:33], s[20:21]
	v_fma_f64 v[40:41], v[34:35], s[6:7], v[40:41]
	v_mul_f64 v[34:35], v[34:35], s[20:21]
	v_fma_f64 v[44:45], v[32:33], s[12:13], v[34:35]
	v_add_f64 v[32:33], v[42:43], v[40:41]
	v_add_f64 v[40:41], v[42:43], -v[40:41]
	v_add_f64 v[34:35], v[36:37], v[44:45]
	v_add_f64 v[42:43], v[36:37], -v[44:45]
	ds_write_b128 v151, v[8:11]
	ds_write_b128 v151, v[120:123] offset:1600
	ds_write_b128 v151, v[16:19] offset:3200
	;; [unrolled: 1-line block ×9, first 2 shown]
	s_waitcnt lgkmcnt(0)
	s_barrier
	buffer_gl0_inv
	global_load_dwordx4 v[228:231], v[0:1], off offset:1504
	v_add_co_u32 v8, vcc_lo, 0x3de0, v58
	v_add_co_ci_u32_e32 v9, vcc_lo, 0, v59, vcc_lo
	ds_read_b128 v[2:5], v38 offset:16000
	ds_read_b128 v[32:35], v38 offset:57600
	;; [unrolled: 1-line block ×3, first 2 shown]
	s_clause 0x1
	global_load_dwordx4 v[232:235], v[8:9], off offset:16
	global_load_dwordx4 v[236:239], v[8:9], off offset:32
	s_waitcnt vmcnt(2) lgkmcnt(2)
	v_mul_f64 v[0:1], v[4:5], v[230:231]
	v_fma_f64 v[0:1], v[2:3], v[228:229], -v[0:1]
	v_mul_f64 v[2:3], v[2:3], v[230:231]
	v_fma_f64 v[2:3], v[4:5], v[228:229], v[2:3]
	ds_read_b128 v[4:7], v38 offset:32000
	s_waitcnt vmcnt(1) lgkmcnt(0)
	v_mul_f64 v[10:11], v[6:7], v[234:235]
	v_fma_f64 v[46:47], v[4:5], v[232:233], -v[10:11]
	v_mul_f64 v[4:5], v[4:5], v[234:235]
	v_fma_f64 v[48:49], v[6:7], v[232:233], v[4:5]
	ds_read_b128 v[4:7], v38 offset:48000
	s_waitcnt vmcnt(0) lgkmcnt(0)
	v_mul_f64 v[8:9], v[6:7], v[238:239]
	v_fma_f64 v[44:45], v[4:5], v[236:237], -v[8:9]
	v_mul_f64 v[4:5], v[4:5], v[238:239]
	v_add_f64 v[72:73], v[0:1], -v[44:45]
	v_fma_f64 v[50:51], v[6:7], v[236:237], v[4:5]
	v_add_co_u32 v4, vcc_lo, 0x6000, v58
	v_add_co_ci_u32_e32 v5, vcc_lo, 0, v59, vcc_lo
	v_add_co_u32 v12, vcc_lo, 0x6360, v58
	v_add_co_ci_u32_e32 v13, vcc_lo, 0, v59, vcc_lo
	global_load_dwordx4 v[224:227], v[4:5], off offset:864
	ds_read_b128 v[6:9], v38 offset:19200
	s_clause 0x1
	global_load_dwordx4 v[244:247], v[12:13], off offset:16
	global_load_dwordx4 v[248:251], v[12:13], off offset:32
	v_fma_f64 v[0:1], v[0:1], 2.0, -v[72:73]
	v_add_f64 v[70:71], v[2:3], -v[50:51]
	v_fma_f64 v[2:3], v[2:3], 2.0, -v[70:71]
	s_waitcnt vmcnt(2) lgkmcnt(0)
	v_mul_f64 v[4:5], v[8:9], v[226:227]
	v_fma_f64 v[4:5], v[6:7], v[224:225], -v[4:5]
	v_mul_f64 v[6:7], v[6:7], v[226:227]
	v_fma_f64 v[6:7], v[8:9], v[224:225], v[6:7]
	ds_read_b128 v[8:11], v38 offset:35200
	s_waitcnt vmcnt(1) lgkmcnt(0)
	v_mul_f64 v[14:15], v[10:11], v[246:247]
	v_fma_f64 v[36:37], v[8:9], v[244:245], -v[14:15]
	v_mul_f64 v[8:9], v[8:9], v[246:247]
	v_fma_f64 v[52:53], v[10:11], v[244:245], v[8:9]
	ds_read_b128 v[8:11], v38 offset:51200
	s_waitcnt vmcnt(0) lgkmcnt(0)
	v_mul_f64 v[12:13], v[10:11], v[250:251]
	v_fma_f64 v[40:41], v[8:9], v[248:249], -v[12:13]
	v_mul_f64 v[8:9], v[8:9], v[250:251]
	v_add_f64 v[76:77], v[4:5], -v[40:41]
	v_fma_f64 v[42:43], v[10:11], v[248:249], v[8:9]
	v_add_co_u32 v8, vcc_lo, 0x8800, v58
	v_add_co_ci_u32_e32 v9, vcc_lo, 0, v59, vcc_lo
	v_add_co_u32 v16, vcc_lo, 0x88e0, v58
	v_add_co_ci_u32_e32 v17, vcc_lo, 0, v59, vcc_lo
	global_load_dwordx4 v[252:255], v[8:9], off offset:224
	ds_read_b128 v[10:13], v38 offset:22400
	s_clause 0x1
	global_load_dwordx4 v[160:163], v[16:17], off offset:16
	global_load_dwordx4 v[156:159], v[16:17], off offset:32
	v_add_f64 v[74:75], v[6:7], -v[42:43]
	s_waitcnt vmcnt(2) lgkmcnt(0)
	v_mul_f64 v[8:9], v[12:13], v[254:255]
	v_fma_f64 v[8:9], v[10:11], v[252:253], -v[8:9]
	v_mul_f64 v[10:11], v[10:11], v[254:255]
	v_fma_f64 v[10:11], v[12:13], v[252:253], v[10:11]
	ds_read_b128 v[12:15], v38 offset:38400
	s_waitcnt vmcnt(1) lgkmcnt(0)
	v_mul_f64 v[18:19], v[14:15], v[162:163]
	v_fma_f64 v[24:25], v[12:13], v[160:161], -v[18:19]
	v_mul_f64 v[12:13], v[12:13], v[162:163]
	ds_read_b128 v[18:21], v38 offset:41600
	v_fma_f64 v[26:27], v[14:15], v[160:161], v[12:13]
	ds_read_b128 v[12:15], v38 offset:54400
	s_waitcnt vmcnt(0) lgkmcnt(0)
	v_mul_f64 v[16:17], v[14:15], v[158:159]
	v_fma_f64 v[28:29], v[12:13], v[156:157], -v[16:17]
	v_mul_f64 v[12:13], v[12:13], v[158:159]
	v_add_f64 v[80:81], v[8:9], -v[28:29]
	v_fma_f64 v[30:31], v[14:15], v[156:157], v[12:13]
	v_add_co_u32 v12, vcc_lo, 0xa800, v58
	v_add_co_ci_u32_e32 v13, vcc_lo, 0, v59, vcc_lo
	v_add_co_u32 v22, vcc_lo, 0xae60, v58
	v_add_co_ci_u32_e32 v23, vcc_lo, 0, v59, vcc_lo
	global_load_dwordx4 v[152:155], v[12:13], off offset:1632
	ds_read_b128 v[14:17], v38 offset:25600
	s_clause 0x1
	global_load_dwordx4 v[141:144], v[22:23], off offset:16
	global_load_dwordx4 v[137:140], v[22:23], off offset:32
	v_add_f64 v[78:79], v[10:11], -v[30:31]
	s_waitcnt vmcnt(2) lgkmcnt(0)
	v_mul_f64 v[12:13], v[16:17], v[154:155]
	s_waitcnt vmcnt(0)
	v_mul_f64 v[22:23], v[32:33], v[139:140]
	v_fma_f64 v[89:90], v[14:15], v[152:153], -v[12:13]
	v_mul_f64 v[14:15], v[14:15], v[154:155]
	v_fma_f64 v[22:23], v[34:35], v[137:138], v[22:23]
	v_fma_f64 v[14:15], v[16:17], v[152:153], v[14:15]
	v_mul_f64 v[16:17], v[20:21], v[143:144]
	v_add_f64 v[87:88], v[14:15], -v[22:23]
	v_fma_f64 v[16:17], v[18:19], v[141:142], -v[16:17]
	v_mul_f64 v[18:19], v[18:19], v[143:144]
	v_fma_f64 v[18:19], v[20:21], v[141:142], v[18:19]
	v_mul_f64 v[20:21], v[34:35], v[139:140]
	v_fma_f64 v[20:21], v[32:33], v[137:138], -v[20:21]
	v_add_co_u32 v32, vcc_lo, 0xd000, v58
	v_add_co_ci_u32_e32 v33, vcc_lo, 0, v59, vcc_lo
	v_add_co_u32 v58, vcc_lo, 0xd3e0, v58
	v_add_co_ci_u32_e32 v59, vcc_lo, 0, v59, vcc_lo
	s_clause 0x2
	global_load_dwordx4 v[240:243], v[32:33], off offset:992
	global_load_dwordx4 v[133:136], v[58:59], off offset:16
	;; [unrolled: 1-line block ×3, first 2 shown]
	v_add_f64 v[12:13], v[89:90], -v[20:21]
	s_waitcnt vmcnt(2)
	v_mul_f64 v[32:33], v[56:57], v[242:243]
	v_mul_f64 v[34:35], v[54:55], v[242:243]
	v_fma_f64 v[32:33], v[54:55], v[240:241], -v[32:33]
	v_fma_f64 v[34:35], v[56:57], v[240:241], v[34:35]
	ds_read_b128 v[54:57], v38 offset:44800
	s_waitcnt vmcnt(1) lgkmcnt(0)
	v_mul_f64 v[60:61], v[56:57], v[135:136]
	v_fma_f64 v[60:61], v[54:55], v[133:134], -v[60:61]
	v_mul_f64 v[54:55], v[54:55], v[135:136]
	v_fma_f64 v[62:63], v[56:57], v[133:134], v[54:55]
	ds_read_b128 v[54:57], v38 offset:60800
	s_waitcnt vmcnt(0) lgkmcnt(0)
	v_mul_f64 v[58:59], v[56:57], v[131:132]
	v_fma_f64 v[58:59], v[54:55], v[129:130], -v[58:59]
	v_mul_f64 v[54:55], v[54:55], v[131:132]
	v_add_f64 v[58:59], v[32:33], -v[58:59]
	v_fma_f64 v[64:65], v[56:57], v[129:130], v[54:55]
	ds_read_b128 v[54:57], v38
	s_waitcnt lgkmcnt(0)
	v_add_f64 v[66:67], v[54:55], -v[46:47]
	v_add_f64 v[68:69], v[56:57], -v[48:49]
	;; [unrolled: 1-line block ×3, first 2 shown]
	v_add_f64 v[46:47], v[68:69], v[72:73]
	v_fma_f64 v[54:55], v[54:55], 2.0, -v[66:67]
	v_fma_f64 v[56:57], v[56:57], 2.0, -v[68:69]
	;; [unrolled: 1-line block ×4, first 2 shown]
	ds_write_b128 v38, v[44:47] offset:48000
	ds_read_b128 v[44:47], v38 offset:3200
	v_add_f64 v[0:1], v[54:55], -v[0:1]
	v_add_f64 v[2:3], v[56:57], -v[2:3]
	s_waitcnt lgkmcnt(0)
	v_add_f64 v[36:37], v[44:45], -v[36:37]
	v_add_f64 v[52:53], v[46:47], -v[52:53]
	v_add_f64 v[39:40], v[36:37], -v[74:75]
	v_add_f64 v[41:42], v[52:53], v[76:77]
	v_fma_f64 v[66:67], v[44:45], 2.0, -v[36:37]
	v_fma_f64 v[68:69], v[46:47], 2.0, -v[52:53]
	v_fma_f64 v[43:44], v[36:37], 2.0, -v[39:40]
	v_fma_f64 v[45:46], v[52:53], 2.0, -v[41:42]
	ds_write_b128 v38, v[39:42] offset:51200
	ds_read_b128 v[39:42], v38 offset:6400
	s_waitcnt lgkmcnt(0)
	v_add_f64 v[36:37], v[39:40], -v[24:25]
	v_add_f64 v[52:53], v[41:42], -v[26:27]
	v_add_f64 v[24:25], v[36:37], -v[78:79]
	v_add_f64 v[26:27], v[52:53], v[80:81]
	v_fma_f64 v[39:40], v[39:40], 2.0, -v[36:37]
	v_fma_f64 v[41:42], v[41:42], 2.0, -v[52:53]
	v_fma_f64 v[28:29], v[36:37], 2.0, -v[24:25]
	v_fma_f64 v[30:31], v[52:53], 2.0, -v[26:27]
	ds_write_b128 v38, v[24:27] offset:54400
	ds_read_b128 v[24:27], v38 offset:9600
	;; [unrolled: 11-line block ×3, first 2 shown]
	s_waitcnt lgkmcnt(0)
	v_add_f64 v[24:25], v[16:17], -v[60:61]
	v_add_f64 v[26:27], v[18:19], -v[62:63]
	v_add_f64 v[60:61], v[34:35], -v[64:65]
	v_fma_f64 v[36:37], v[16:17], 2.0, -v[24:25]
	v_fma_f64 v[52:53], v[18:19], 2.0, -v[26:27]
	v_add_f64 v[16:17], v[24:25], -v[60:61]
	v_add_f64 v[18:19], v[26:27], v[58:59]
	ds_write_b128 v38, v[16:19] offset:60800
	ds_write_b128 v38, v[48:51] offset:16000
	v_fma_f64 v[24:25], v[24:25], 2.0, -v[16:17]
	v_fma_f64 v[26:27], v[26:27], 2.0, -v[18:19]
	;; [unrolled: 1-line block ×4, first 2 shown]
	ds_write_b128 v38, v[0:3] offset:32000
	ds_write_b128 v38, v[43:46] offset:19200
	v_fma_f64 v[0:1], v[4:5], 2.0, -v[76:77]
	v_fma_f64 v[2:3], v[6:7], 2.0, -v[74:75]
	v_add_f64 v[0:1], v[66:67], -v[0:1]
	v_add_f64 v[2:3], v[68:69], -v[2:3]
	ds_write_b128 v38, v[0:3] offset:35200
	ds_write_b128 v38, v[28:31] offset:22400
	v_fma_f64 v[4:5], v[66:67], 2.0, -v[0:1]
	v_fma_f64 v[6:7], v[68:69], 2.0, -v[2:3]
	v_fma_f64 v[0:1], v[8:9], 2.0, -v[80:81]
	v_fma_f64 v[2:3], v[10:11], 2.0, -v[78:79]
	v_add_f64 v[0:1], v[39:40], -v[0:1]
	v_add_f64 v[2:3], v[41:42], -v[2:3]
	ds_write_b128 v38, v[0:3] offset:38400
	ds_write_b128 v38, v[20:23] offset:25600
	v_fma_f64 v[8:9], v[39:40], 2.0, -v[0:1]
	v_fma_f64 v[10:11], v[41:42], 2.0, -v[2:3]
	;; [unrolled: 8-line block ×3, first 2 shown]
	v_fma_f64 v[0:1], v[32:33], 2.0, -v[58:59]
	v_fma_f64 v[2:3], v[34:35], 2.0, -v[60:61]
	v_add_f64 v[0:1], v[36:37], -v[0:1]
	v_add_f64 v[2:3], v[52:53], -v[2:3]
	v_fma_f64 v[20:21], v[36:37], 2.0, -v[0:1]
	v_fma_f64 v[22:23], v[52:53], 2.0, -v[2:3]
	ds_write_b128 v38, v[0:3] offset:44800
	ds_write_b128 v38, v[16:19]
	ds_write_b128 v38, v[4:7] offset:3200
	ds_write_b128 v38, v[8:11] offset:6400
	;; [unrolled: 1-line block ×4, first 2 shown]
	v_add_co_u32 v0, vcc_lo, 0xf800, v84
	v_add_co_ci_u32_e32 v1, vcc_lo, 0, v113, vcc_lo
	s_waitcnt lgkmcnt(0)
	s_barrier
	buffer_gl0_inv
	global_load_dwordx4 v[0:3], v[0:1], off offset:512
	ds_read_b128 v[4:7], v38
	s_waitcnt vmcnt(0) lgkmcnt(0)
	v_mul_f64 v[8:9], v[6:7], v[2:3]
	v_mul_f64 v[2:3], v[4:5], v[2:3]
	v_fma_f64 v[85:86], v[4:5], v[0:1], -v[8:9]
	v_fma_f64 v[87:88], v[6:7], v[0:1], v[2:3]
	v_add_co_u32 v0, vcc_lo, 0x11000, v84
	v_add_co_ci_u32_e32 v1, vcc_lo, 0, v113, vcc_lo
	ds_read_b128 v[4:7], v38 offset:6400
	global_load_dwordx4 v[0:3], v[0:1], off offset:768
	s_waitcnt vmcnt(0) lgkmcnt(0)
	v_mul_f64 v[8:9], v[6:7], v[2:3]
	v_mul_f64 v[2:3], v[4:5], v[2:3]
	v_fma_f64 v[75:76], v[4:5], v[0:1], -v[8:9]
	v_fma_f64 v[77:78], v[6:7], v[0:1], v[2:3]
	v_add_co_u32 v0, vcc_lo, 0x12800, v84
	v_add_co_ci_u32_e32 v1, vcc_lo, 0, v113, vcc_lo
	ds_read_b128 v[4:7], v38 offset:12800
	global_load_dwordx4 v[0:3], v[0:1], off offset:1024
	;; [unrolled: 9-line block ×5, first 2 shown]
	s_waitcnt vmcnt(0) lgkmcnt(0)
	v_mul_f64 v[8:9], v[6:7], v[2:3]
	v_mul_f64 v[2:3], v[4:5], v[2:3]
	v_fma_f64 v[59:60], v[4:5], v[0:1], -v[8:9]
	v_fma_f64 v[61:62], v[6:7], v[0:1], v[2:3]
	v_add_co_u32 v0, vcc_lo, 0x19000, v84
	v_add_co_ci_u32_e32 v1, vcc_lo, 0, v113, vcc_lo
	ds_read_b128 v[4:7], v38 offset:38400
	global_load_dwordx4 v[0:3], v[0:1], off
	s_waitcnt vmcnt(0) lgkmcnt(0)
	v_mul_f64 v[8:9], v[6:7], v[2:3]
	v_mul_f64 v[2:3], v[4:5], v[2:3]
	v_fma_f64 v[55:56], v[4:5], v[0:1], -v[8:9]
	v_fma_f64 v[57:58], v[6:7], v[0:1], v[2:3]
	v_add_co_u32 v0, vcc_lo, 0x1a800, v84
	v_add_co_ci_u32_e32 v1, vcc_lo, 0, v113, vcc_lo
	ds_read_b128 v[4:7], v38 offset:44800
	global_load_dwordx4 v[0:3], v[0:1], off offset:256
	s_waitcnt vmcnt(0) lgkmcnt(0)
	v_mul_f64 v[8:9], v[6:7], v[2:3]
	v_mul_f64 v[2:3], v[4:5], v[2:3]
	v_fma_f64 v[51:52], v[4:5], v[0:1], -v[8:9]
	v_fma_f64 v[53:54], v[6:7], v[0:1], v[2:3]
	v_add_co_u32 v0, vcc_lo, 0x1c000, v84
	v_add_co_ci_u32_e32 v1, vcc_lo, 0, v113, vcc_lo
	ds_read_b128 v[4:7], v38 offset:51200
	global_load_dwordx4 v[0:3], v[0:1], off offset:512
	;; [unrolled: 9-line block ×12, first 2 shown]
	s_waitcnt vmcnt(0) lgkmcnt(0)
	v_mul_f64 v[8:9], v[6:7], v[2:3]
	v_mul_f64 v[2:3], v[4:5], v[2:3]
	v_fma_f64 v[8:9], v[4:5], v[0:1], -v[8:9]
	v_fma_f64 v[10:11], v[6:7], v[0:1], v[2:3]
	v_add_co_u32 v0, vcc_lo, 0x1e000, v84
	v_add_co_ci_u32_e32 v1, vcc_lo, 0, v113, vcc_lo
	global_load_dwordx4 v[4:7], v[0:1], off offset:1920
	ds_read_b128 v[0:3], v38 offset:60800
	s_waitcnt vmcnt(0) lgkmcnt(0)
	v_mul_f64 v[36:37], v[2:3], v[6:7]
	v_mul_f64 v[6:7], v[0:1], v[6:7]
	v_fma_f64 v[0:1], v[0:1], v[4:5], -v[36:37]
	v_fma_f64 v[2:3], v[2:3], v[4:5], v[6:7]
	ds_write_b128 v38, v[85:88]
	ds_write_b128 v38, v[75:78] offset:6400
	ds_write_b128 v38, v[71:74] offset:12800
	ds_write_b128 v38, v[67:70] offset:19200
	ds_write_b128 v38, v[63:66] offset:25600
	ds_write_b128 v38, v[59:62] offset:32000
	ds_write_b128 v38, v[55:58] offset:38400
	ds_write_b128 v38, v[51:54] offset:44800
	ds_write_b128 v38, v[47:50] offset:51200
	ds_write_b128 v38, v[80:83] offset:57600
	ds_write_b128 v38, v[43:46] offset:3200
	ds_write_b128 v38, v[39:42] offset:9600
	ds_write_b128 v38, v[32:35] offset:16000
	ds_write_b128 v38, v[28:31] offset:22400
	ds_write_b128 v38, v[24:27] offset:28800
	ds_write_b128 v38, v[20:23] offset:35200
	ds_write_b128 v38, v[16:19] offset:41600
	ds_write_b128 v38, v[12:15] offset:48000
	ds_write_b128 v38, v[8:11] offset:54400
	ds_write_b128 v38, v[0:3] offset:60800
	s_waitcnt lgkmcnt(0)
	s_barrier
	buffer_gl0_inv
	ds_read_b128 v[0:3], v38
	ds_read_b128 v[4:7], v38 offset:12800
	ds_read_b128 v[8:11], v38 offset:25600
	s_waitcnt lgkmcnt(1)
	v_add_f64 v[12:13], v[0:1], v[4:5]
	s_waitcnt lgkmcnt(0)
	v_add_f64 v[22:23], v[4:5], -v[8:9]
	v_add_f64 v[24:25], v[8:9], -v[4:5]
	;; [unrolled: 1-line block ×4, first 2 shown]
	v_add_f64 v[16:17], v[12:13], v[8:9]
	v_add_f64 v[12:13], v[2:3], v[6:7]
	;; [unrolled: 1-line block ×3, first 2 shown]
	ds_read_b128 v[12:15], v38 offset:38400
	s_waitcnt lgkmcnt(0)
	v_add_f64 v[20:21], v[8:9], v[12:13]
	v_add_f64 v[36:37], v[10:11], -v[14:15]
	v_add_f64 v[26:27], v[10:11], v[14:15]
	v_add_f64 v[43:44], v[8:9], -v[12:13]
	ds_read_b128 v[8:11], v38 offset:51200
	s_waitcnt lgkmcnt(0)
	v_add_f64 v[47:48], v[6:7], -v[10:11]
	v_add_f64 v[28:29], v[4:5], v[8:9]
	v_add_f64 v[49:50], v[4:5], -v[8:9]
	v_add_f64 v[30:31], v[6:7], v[10:11]
	v_add_f64 v[4:5], v[16:17], v[12:13]
	;; [unrolled: 1-line block ×3, first 2 shown]
	v_add_f64 v[34:35], v[8:9], -v[12:13]
	v_add_f64 v[51:52], v[12:13], -v[8:9]
	;; [unrolled: 1-line block ×4, first 2 shown]
	v_add_f64 v[41:42], v[4:5], v[8:9]
	v_add_f64 v[55:56], v[6:7], v[10:11]
	ds_read_b128 v[4:7], v38 offset:6400
	ds_read_b128 v[8:11], v38 offset:19200
	;; [unrolled: 1-line block ×3, first 2 shown]
	s_waitcnt lgkmcnt(1)
	v_add_f64 v[16:17], v[4:5], v[8:9]
	s_waitcnt lgkmcnt(0)
	v_add_f64 v[65:66], v[8:9], -v[12:13]
	v_add_f64 v[67:68], v[12:13], -v[8:9]
	;; [unrolled: 1-line block ×4, first 2 shown]
	v_add_f64 v[57:58], v[16:17], v[12:13]
	v_add_f64 v[16:17], v[6:7], v[10:11]
	;; [unrolled: 1-line block ×3, first 2 shown]
	ds_read_b128 v[16:19], v38 offset:44800
	s_waitcnt lgkmcnt(0)
	v_add_f64 v[69:70], v[14:15], v[18:19]
	v_add_f64 v[61:62], v[12:13], v[16:17]
	v_add_f64 v[63:64], v[14:15], -v[18:19]
	v_add_f64 v[71:72], v[12:13], -v[16:17]
	ds_read_b128 v[12:15], v38 offset:57600
	v_fma_f64 v[69:70], v[69:70], -0.5, v[6:7]
	v_fma_f64 v[61:62], v[61:62], -0.5, v[4:5]
	s_waitcnt lgkmcnt(0)
	v_add_f64 v[77:78], v[10:11], -v[14:15]
	v_add_f64 v[79:80], v[8:9], v[12:13]
	v_add_f64 v[84:85], v[8:9], -v[12:13]
	v_add_f64 v[8:9], v[10:11], v[14:15]
	v_add_f64 v[10:11], v[57:58], v[16:17]
	;; [unrolled: 1-line block ×3, first 2 shown]
	v_add_f64 v[59:60], v[12:13], -v[16:17]
	v_add_f64 v[86:87], v[14:15], -v[18:19]
	;; [unrolled: 1-line block ×4, first 2 shown]
	v_fma_f64 v[4:5], v[79:80], -0.5, v[4:5]
	v_fma_f64 v[6:7], v[8:9], -0.5, v[6:7]
	v_add_f64 v[10:11], v[10:11], v[12:13]
	v_fma_f64 v[8:9], v[84:85], s[14:15], v[69:70]
	v_add_f64 v[12:13], v[57:58], v[14:15]
	v_fma_f64 v[14:15], v[20:21], -0.5, v[0:1]
	v_fma_f64 v[0:1], v[28:29], -0.5, v[0:1]
	v_add_f64 v[59:60], v[65:66], v[59:60]
	v_add_f64 v[65:66], v[73:74], v[86:87]
	v_fma_f64 v[57:58], v[26:27], -0.5, v[2:3]
	v_fma_f64 v[2:3], v[30:31], -0.5, v[2:3]
	v_add_f64 v[18:19], v[75:76], v[18:19]
	v_add_f64 v[16:17], v[67:68], v[16:17]
	;; [unrolled: 1-line block ×3, first 2 shown]
	v_add_f64 v[80:81], v[41:42], -v[10:11]
	v_fma_f64 v[8:9], v[71:72], s[6:7], v[8:9]
	v_fma_f64 v[10:11], v[77:78], s[16:17], v[61:62]
	v_add_f64 v[30:31], v[55:56], v[12:13]
	v_add_f64 v[82:83], v[55:56], -v[12:13]
	v_add_f64 v[12:13], v[22:23], v[34:35]
	v_fma_f64 v[22:23], v[49:50], s[14:15], v[57:58]
	v_add_f64 v[55:56], v[32:33], v[39:40]
	v_fma_f64 v[8:9], v[65:66], s[8:9], v[8:9]
	v_fma_f64 v[10:11], v[63:64], s[12:13], v[10:11]
	;; [unrolled: 1-line block ×3, first 2 shown]
	v_mul_f64 v[20:21], v[8:9], s[12:13]
	v_fma_f64 v[10:11], v[59:60], s[8:9], v[10:11]
	v_fma_f64 v[22:23], v[55:56], s[8:9], v[22:23]
	;; [unrolled: 1-line block ×3, first 2 shown]
	v_mul_f64 v[10:11], v[10:11], s[6:7]
	v_fma_f64 v[8:9], v[8:9], s[22:23], v[10:11]
	v_fma_f64 v[10:11], v[47:48], s[16:17], v[14:15]
	v_add_f64 v[34:35], v[22:23], v[8:9]
	v_fma_f64 v[10:11], v[36:37], s[12:13], v[10:11]
	v_add_f64 v[41:42], v[22:23], -v[8:9]
	v_fma_f64 v[22:23], v[63:64], s[14:15], v[4:5]
	v_add_f64 v[8:9], v[24:25], v[51:52]
	v_fma_f64 v[4:5], v[63:64], s[16:17], v[4:5]
	v_fma_f64 v[10:11], v[12:13], s[8:9], v[10:11]
	;; [unrolled: 1-line block ×4, first 2 shown]
	v_add_f64 v[32:33], v[10:11], v[20:21]
	v_add_f64 v[39:40], v[10:11], -v[20:21]
	v_fma_f64 v[20:21], v[71:72], s[16:17], v[6:7]
	v_fma_f64 v[22:23], v[16:17], s[8:9], v[22:23]
	;; [unrolled: 1-line block ×3, first 2 shown]
	v_add_f64 v[10:11], v[45:46], v[53:54]
	v_fma_f64 v[4:5], v[16:17], s[8:9], v[4:5]
	v_fma_f64 v[20:21], v[84:85], s[6:7], v[20:21]
	;; [unrolled: 1-line block ×5, first 2 shown]
	v_mul_f64 v[24:25], v[20:21], s[16:17]
	v_mul_f64 v[20:21], v[20:21], s[8:9]
	v_fma_f64 v[24:25], v[22:23], s[8:9], v[24:25]
	v_fma_f64 v[26:27], v[22:23], s[14:15], v[20:21]
	;; [unrolled: 1-line block ×12, first 2 shown]
	v_mul_f64 v[8:9], v[6:7], s[16:17]
	v_mul_f64 v[6:7], v[6:7], s[18:19]
	v_fma_f64 v[2:3], v[10:11], s[8:9], v[2:3]
	v_fma_f64 v[51:52], v[10:11], s[8:9], v[22:23]
	v_add_f64 v[20:21], v[45:46], v[24:25]
	v_add_f64 v[24:25], v[45:46], -v[24:25]
	v_fma_f64 v[16:17], v[4:5], s[18:19], v[8:9]
	v_fma_f64 v[4:5], v[4:5], s[14:15], v[6:7]
	;; [unrolled: 1-line block ×3, first 2 shown]
	v_add_f64 v[22:23], v[51:52], v[26:27]
	v_add_f64 v[26:27], v[51:52], -v[26:27]
	v_add_f64 v[8:9], v[0:1], v[16:17]
	v_add_f64 v[16:17], v[0:1], -v[16:17]
	v_fma_f64 v[0:1], v[84:85], s[16:17], v[69:70]
	v_add_f64 v[10:11], v[2:3], v[4:5]
	v_add_f64 v[18:19], v[2:3], -v[4:5]
	v_fma_f64 v[4:5], v[49:50], s[16:17], v[57:58]
	v_fma_f64 v[2:3], v[47:48], s[14:15], v[14:15]
	;; [unrolled: 1-line block ×10, first 2 shown]
	v_mul_f64 v[6:7], v[0:1], s[12:13]
	v_mul_f64 v[0:1], v[0:1], s[20:21]
	v_fma_f64 v[12:13], v[4:5], s[20:21], v[6:7]
	v_fma_f64 v[0:1], v[4:5], s[6:7], v[0:1]
	v_add_f64 v[4:5], v[2:3], v[12:13]
	v_add_f64 v[6:7], v[14:15], v[0:1]
	v_add_f64 v[12:13], v[2:3], -v[12:13]
	v_add_f64 v[14:15], v[14:15], -v[0:1]
	ds_read_b128 v[0:3], v38 offset:3200
	ds_read_b128 v[44:47], v38 offset:9600
	;; [unrolled: 1-line block ×10, first 2 shown]
	s_waitcnt lgkmcnt(0)
	s_barrier
	buffer_gl0_inv
	ds_write_b128 v115, v[28:31]
	ds_write_b128 v115, v[80:83] offset:80
	ds_write_b128 v115, v[32:35] offset:16
	;; [unrolled: 1-line block ×9, first 2 shown]
	v_add_f64 v[4:5], v[0:1], v[72:73]
	v_add_f64 v[6:7], v[2:3], v[74:75]
	;; [unrolled: 1-line block ×3, first 2 shown]
	v_add_f64 v[34:35], v[76:77], -v[64:65]
	v_add_f64 v[24:25], v[68:69], -v[64:65]
	;; [unrolled: 1-line block ×3, first 2 shown]
	v_add_f64 v[41:42], v[44:45], v[52:53]
	v_add_f64 v[14:15], v[74:75], -v[78:79]
	v_add_f64 v[18:19], v[78:79], -v[74:75]
	;; [unrolled: 1-line block ×3, first 2 shown]
	v_add_f64 v[22:23], v[74:75], v[70:71]
	v_add_f64 v[74:75], v[62:63], v[50:51]
	v_add_f64 v[32:33], v[78:79], -v[66:67]
	v_add_f64 v[10:11], v[72:73], -v[76:77]
	;; [unrolled: 1-line block ×3, first 2 shown]
	v_add_f64 v[12:13], v[78:79], v[66:67]
	v_add_f64 v[20:21], v[72:73], v[68:69]
	v_add_f64 v[39:40], v[72:73], -v[68:69]
	v_add_f64 v[28:29], v[70:71], -v[66:67]
	;; [unrolled: 1-line block ×4, first 2 shown]
	v_add_f64 v[80:81], v[52:53], v[56:57]
	v_add_f64 v[4:5], v[4:5], v[76:77]
	;; [unrolled: 1-line block ×3, first 2 shown]
	v_add_f64 v[76:77], v[54:55], -v[62:63]
	v_add_f64 v[78:79], v[54:55], -v[58:59]
	;; [unrolled: 1-line block ×4, first 2 shown]
	v_add_f64 v[41:42], v[41:42], v[60:61]
	v_fma_f64 v[88:89], v[22:23], -0.5, v[2:3]
	v_fma_f64 v[74:75], v[74:75], -0.5, v[46:47]
	;; [unrolled: 1-line block ×3, first 2 shown]
	v_add_f64 v[4:5], v[4:5], v[64:65]
	v_add_f64 v[64:65], v[46:47], v[54:55]
	;; [unrolled: 1-line block ×8, first 2 shown]
	v_add_f64 v[70:71], v[52:53], -v[60:61]
	v_add_f64 v[52:53], v[52:53], -v[56:57]
	v_add_f64 v[68:69], v[62:63], -v[50:51]
	v_add_f64 v[60:61], v[60:61], -v[48:49]
	v_add_f64 v[62:63], v[62:63], -v[54:55]
	v_add_f64 v[54:55], v[54:55], v[58:59]
	v_add_f64 v[48:49], v[48:49], -v[56:57]
	v_add_f64 v[41:42], v[41:42], v[56:57]
	v_fma_f64 v[66:67], v[66:67], -0.5, v[44:45]
	v_fma_f64 v[43:44], v[80:81], -0.5, v[44:45]
	v_add_f64 v[64:65], v[64:65], v[50:51]
	v_add_f64 v[50:51], v[50:51], -v[58:59]
	v_fma_f64 v[45:46], v[54:55], -0.5, v[46:47]
	v_add_f64 v[54:55], v[14:15], v[28:29]
	v_add_f64 v[28:29], v[72:73], v[48:49]
	;; [unrolled: 1-line block ×3, first 2 shown]
	v_fma_f64 v[58:59], v[8:9], -0.5, v[0:1]
	v_fma_f64 v[8:9], v[52:53], s[14:15], v[74:75]
	v_fma_f64 v[64:65], v[20:21], -0.5, v[0:1]
	v_add_f64 v[0:1], v[4:5], v[41:42]
	v_add_f64 v[4:5], v[4:5], -v[41:42]
	v_add_f64 v[41:42], v[10:11], v[24:25]
	v_fma_f64 v[10:11], v[78:79], s[16:17], v[66:67]
	v_add_f64 v[24:25], v[16:17], v[26:27]
	v_fma_f64 v[16:17], v[60:61], s[16:17], v[45:46]
	v_add_f64 v[26:27], v[18:19], v[30:31]
	v_add_f64 v[30:31], v[62:63], v[50:51]
	v_fma_f64 v[18:19], v[68:69], s[14:15], v[43:44]
	v_add_f64 v[2:3], v[6:7], v[56:57]
	v_add_f64 v[6:7], v[6:7], -v[56:57]
	v_add_f64 v[56:57], v[70:71], v[82:83]
	v_add_f64 v[70:71], v[76:77], v[84:85]
	v_fma_f64 v[8:9], v[60:61], s[6:7], v[8:9]
	v_fma_f64 v[10:11], v[68:69], s[12:13], v[10:11]
	;; [unrolled: 1-line block ×8, first 2 shown]
	v_mul_f64 v[12:13], v[8:9], s[12:13]
	v_fma_f64 v[12:13], v[10:11], s[22:23], v[12:13]
	v_mul_f64 v[10:11], v[10:11], s[6:7]
	v_fma_f64 v[14:15], v[8:9], s[22:23], v[10:11]
	v_fma_f64 v[8:9], v[36:37], s[16:17], v[58:59]
	;; [unrolled: 1-line block ×7, first 2 shown]
	v_add_f64 v[8:9], v[20:21], v[12:13]
	v_add_f64 v[12:13], v[20:21], -v[12:13]
	v_mul_f64 v[20:21], v[16:17], s[16:17]
	v_mul_f64 v[16:17], v[16:17], s[8:9]
	v_add_f64 v[10:11], v[22:23], v[14:15]
	v_add_f64 v[14:15], v[22:23], -v[14:15]
	v_fma_f64 v[20:21], v[18:19], s[8:9], v[20:21]
	v_fma_f64 v[22:23], v[18:19], s[14:15], v[16:17]
	;; [unrolled: 1-line block ×8, first 2 shown]
	v_add_f64 v[16:17], v[47:48], v[20:21]
	v_add_f64 v[20:21], v[47:48], -v[20:21]
	v_fma_f64 v[47:48], v[32:33], s[16:17], v[64:65]
	v_add_f64 v[18:19], v[49:50], v[22:23]
	v_add_f64 v[22:23], v[49:50], -v[22:23]
	v_fma_f64 v[47:48], v[36:37], s[6:7], v[47:48]
	v_fma_f64 v[36:37], v[36:37], s[14:15], v[58:59]
	;; [unrolled: 1-line block ×23, first 2 shown]
	v_mul_f64 v[28:29], v[24:25], s[16:17]
	v_mul_f64 v[24:25], v[24:25], s[18:19]
	;; [unrolled: 1-line block ×4, first 2 shown]
	v_fma_f64 v[28:29], v[26:27], s[18:19], v[28:29]
	v_fma_f64 v[30:31], v[26:27], s[14:15], v[24:25]
	;; [unrolled: 1-line block ×4, first 2 shown]
	v_add_f64 v[24:25], v[47:48], v[28:29]
	v_add_f64 v[26:27], v[49:50], v[30:31]
	;; [unrolled: 1-line block ×4, first 2 shown]
	v_add_f64 v[28:29], v[47:48], -v[28:29]
	v_add_f64 v[30:31], v[49:50], -v[30:31]
	;; [unrolled: 1-line block ×4, first 2 shown]
	ds_write_b128 v114, v[0:3]
	ds_write_b128 v114, v[8:11] offset:16
	ds_write_b128 v114, v[16:19] offset:32
	;; [unrolled: 1-line block ×9, first 2 shown]
	s_waitcnt lgkmcnt(0)
	s_barrier
	buffer_gl0_inv
	ds_read_b128 v[0:3], v38 offset:6400
	s_clause 0x3
	buffer_load_dword v6, off, s[28:31], 0 offset:332
	buffer_load_dword v7, off, s[28:31], 0 offset:336
	buffer_load_dword v8, off, s[28:31], 0 offset:340
	buffer_load_dword v9, off, s[28:31], 0 offset:344
	s_waitcnt vmcnt(0) lgkmcnt(0)
	v_mul_f64 v[4:5], v[8:9], v[2:3]
	v_fma_f64 v[41:42], v[6:7], v[0:1], v[4:5]
	v_mul_f64 v[0:1], v[8:9], v[0:1]
	v_fma_f64 v[43:44], v[6:7], v[2:3], -v[0:1]
	ds_read_b128 v[0:3], v38 offset:12800
	s_clause 0x3
	buffer_load_dword v6, off, s[28:31], 0 offset:348
	buffer_load_dword v7, off, s[28:31], 0 offset:352
	buffer_load_dword v8, off, s[28:31], 0 offset:356
	buffer_load_dword v9, off, s[28:31], 0 offset:360
	s_waitcnt vmcnt(0) lgkmcnt(0)
	v_mul_f64 v[4:5], v[8:9], v[2:3]
	v_fma_f64 v[45:46], v[6:7], v[0:1], v[4:5]
	v_mul_f64 v[0:1], v[8:9], v[0:1]
	v_fma_f64 v[47:48], v[6:7], v[2:3], -v[0:1]
	;; [unrolled: 11-line block ×3, first 2 shown]
	ds_read_b128 v[0:3], v38 offset:25600
	s_clause 0x3
	buffer_load_dword v6, off, s[28:31], 0 offset:380
	buffer_load_dword v7, off, s[28:31], 0 offset:384
	;; [unrolled: 1-line block ×4, first 2 shown]
	v_add_f64 v[81:82], v[43:44], v[51:52]
	s_waitcnt vmcnt(0) lgkmcnt(0)
	v_mul_f64 v[4:5], v[8:9], v[2:3]
	v_fma_f64 v[53:54], v[6:7], v[0:1], v[4:5]
	v_mul_f64 v[0:1], v[8:9], v[0:1]
	v_fma_f64 v[55:56], v[6:7], v[2:3], -v[0:1]
	ds_read_b128 v[0:3], v38 offset:32000
	s_clause 0x3
	buffer_load_dword v6, off, s[28:31], 0 offset:396
	buffer_load_dword v7, off, s[28:31], 0 offset:400
	;; [unrolled: 1-line block ×4, first 2 shown]
	s_waitcnt vmcnt(0) lgkmcnt(0)
	v_mul_f64 v[4:5], v[8:9], v[2:3]
	v_fma_f64 v[57:58], v[6:7], v[0:1], v[4:5]
	v_mul_f64 v[0:1], v[8:9], v[0:1]
	v_fma_f64 v[59:60], v[6:7], v[2:3], -v[0:1]
	ds_read_b128 v[0:3], v38 offset:38400
	s_clause 0x3
	buffer_load_dword v6, off, s[28:31], 0 offset:412
	buffer_load_dword v7, off, s[28:31], 0 offset:416
	;; [unrolled: 1-line block ×4, first 2 shown]
	v_add_f64 v[81:82], v[81:82], v[59:60]
	s_waitcnt vmcnt(0) lgkmcnt(0)
	v_mul_f64 v[4:5], v[8:9], v[2:3]
	v_fma_f64 v[61:62], v[6:7], v[0:1], v[4:5]
	v_mul_f64 v[0:1], v[8:9], v[0:1]
	v_add_f64 v[77:78], v[53:54], v[61:62]
	v_fma_f64 v[63:64], v[6:7], v[2:3], -v[0:1]
	ds_read_b128 v[0:3], v38 offset:44800
	s_clause 0x3
	buffer_load_dword v6, off, s[28:31], 0 offset:428
	buffer_load_dword v7, off, s[28:31], 0 offset:432
	;; [unrolled: 1-line block ×4, first 2 shown]
	v_add_f64 v[147:148], v[53:54], -v[61:62]
	v_add_f64 v[126:127], v[55:56], -v[63:64]
	s_waitcnt vmcnt(0) lgkmcnt(0)
	v_mul_f64 v[4:5], v[8:9], v[2:3]
	v_fma_f64 v[65:66], v[6:7], v[0:1], v[4:5]
	v_mul_f64 v[0:1], v[8:9], v[0:1]
	v_fma_f64 v[67:68], v[6:7], v[2:3], -v[0:1]
	ds_read_b128 v[0:3], v38 offset:51200
	s_clause 0x3
	buffer_load_dword v6, off, s[28:31], 0 offset:444
	buffer_load_dword v7, off, s[28:31], 0 offset:448
	;; [unrolled: 1-line block ×4, first 2 shown]
	v_add_f64 v[81:82], v[81:82], v[67:68]
	v_add_f64 v[112:113], v[59:60], -v[67:68]
	s_waitcnt vmcnt(0) lgkmcnt(0)
	v_mul_f64 v[4:5], v[8:9], v[2:3]
	v_fma_f64 v[69:70], v[6:7], v[0:1], v[4:5]
	v_mul_f64 v[0:1], v[8:9], v[0:1]
	v_add_f64 v[79:80], v[45:46], v[69:70]
	v_fma_f64 v[71:72], v[6:7], v[2:3], -v[0:1]
	ds_read_b128 v[0:3], v38 offset:57600
	s_clause 0x3
	buffer_load_dword v6, off, s[28:31], 0 offset:460
	buffer_load_dword v7, off, s[28:31], 0 offset:464
	;; [unrolled: 1-line block ×4, first 2 shown]
	v_add_f64 v[88:89], v[71:72], -v[63:64]
	s_waitcnt vmcnt(0) lgkmcnt(0)
	v_mul_f64 v[4:5], v[8:9], v[2:3]
	v_fma_f64 v[73:74], v[6:7], v[0:1], v[4:5]
	v_mul_f64 v[0:1], v[8:9], v[0:1]
	v_fma_f64 v[75:76], v[6:7], v[2:3], -v[0:1]
	ds_read_b128 v[0:3], v38 offset:9600
	s_clause 0x3
	buffer_load_dword v6, off, s[28:31], 0 offset:476
	buffer_load_dword v7, off, s[28:31], 0 offset:480
	;; [unrolled: 1-line block ×4, first 2 shown]
	v_add_f64 v[82:83], v[81:82], v[75:76]
	s_waitcnt vmcnt(0) lgkmcnt(0)
	v_mul_f64 v[4:5], v[8:9], v[2:3]
	v_fma_f64 v[86:87], v[6:7], v[0:1], v[4:5]
	v_mul_f64 v[0:1], v[8:9], v[0:1]
	v_fma_f64 v[124:125], v[6:7], v[2:3], -v[0:1]
	ds_read_b128 v[0:3], v38 offset:16000
	s_clause 0x3
	buffer_load_dword v4, off, s[28:31], 0 offset:492
	buffer_load_dword v5, off, s[28:31], 0 offset:496
	;; [unrolled: 1-line block ×4, first 2 shown]
	s_waitcnt vmcnt(0) lgkmcnt(0)
	v_mul_f64 v[8:9], v[6:7], v[2:3]
	v_fma_f64 v[10:11], v[4:5], v[0:1], v[8:9]
	v_mul_f64 v[0:1], v[6:7], v[0:1]
	v_fma_f64 v[12:13], v[4:5], v[2:3], -v[0:1]
	ds_read_b128 v[0:3], v38 offset:22400
	s_clause 0x3
	buffer_load_dword v4, off, s[28:31], 0 offset:508
	buffer_load_dword v5, off, s[28:31], 0 offset:512
	;; [unrolled: 1-line block ×4, first 2 shown]
	s_waitcnt vmcnt(0) lgkmcnt(0)
	v_mul_f64 v[8:9], v[6:7], v[2:3]
	v_fma_f64 v[14:15], v[4:5], v[0:1], v[8:9]
	v_mul_f64 v[0:1], v[6:7], v[0:1]
	v_fma_f64 v[84:85], v[4:5], v[2:3], -v[0:1]
	ds_read_b128 v[0:3], v38 offset:28800
	v_add_f64 v[4:5], v[47:48], -v[71:72]
	s_waitcnt lgkmcnt(0)
	v_mul_f64 v[16:17], v[118:119], v[2:3]
	v_fma_f64 v[16:17], v[116:117], v[0:1], v[16:17]
	v_mul_f64 v[0:1], v[118:119], v[0:1]
	v_fma_f64 v[18:19], v[116:117], v[2:3], -v[0:1]
	ds_read_b128 v[0:3], v38 offset:35200
	s_waitcnt lgkmcnt(0)
	v_mul_f64 v[20:21], v[109:110], v[2:3]
	v_fma_f64 v[22:23], v[107:108], v[0:1], v[20:21]
	v_mul_f64 v[0:1], v[109:110], v[0:1]
	v_fma_f64 v[20:21], v[107:108], v[2:3], -v[0:1]
	ds_read_b128 v[0:3], v38 offset:41600
	;; [unrolled: 6-line block ×3, first 2 shown]
	s_waitcnt lgkmcnt(0)
	v_mul_f64 v[24:25], v[101:102], v[2:3]
	v_fma_f64 v[30:31], v[99:100], v[0:1], v[24:25]
	v_mul_f64 v[0:1], v[101:102], v[0:1]
	v_add_f64 v[102:103], v[51:52], -v[75:76]
	v_fma_f64 v[24:25], v[99:100], v[2:3], -v[0:1]
	ds_read_b128 v[0:3], v38 offset:54400
	v_add_f64 v[100:101], v[57:58], -v[65:66]
	s_waitcnt lgkmcnt(0)
	v_mul_f64 v[32:33], v[97:98], v[2:3]
	v_fma_f64 v[34:35], v[95:96], v[0:1], v[32:33]
	v_mul_f64 v[0:1], v[97:98], v[0:1]
	v_add_f64 v[98:99], v[49:50], -v[73:74]
	v_fma_f64 v[36:37], v[95:96], v[2:3], -v[0:1]
	ds_read_b128 v[0:3], v38 offset:60800
	s_waitcnt lgkmcnt(0)
	v_mul_f64 v[32:33], v[93:94], v[2:3]
	v_fma_f64 v[39:40], v[91:92], v[0:1], v[32:33]
	v_mul_f64 v[0:1], v[93:94], v[0:1]
	v_fma_f64 v[32:33], v[91:92], v[2:3], -v[0:1]
	ds_read_b128 v[0:3], v38
	v_add_f64 v[90:91], v[73:74], -v[65:66]
	s_waitcnt lgkmcnt(0)
	v_fma_f64 v[104:105], v[79:80], -0.5, v[0:1]
	v_add_f64 v[79:80], v[55:56], v[63:64]
	v_fma_f64 v[77:78], v[77:78], -0.5, v[0:1]
	v_add_f64 v[0:1], v[0:1], v[45:46]
	;; [unrolled: 2-line block ×3, first 2 shown]
	v_add_f64 v[0:1], v[0:1], v[53:54]
	v_fma_f64 v[106:107], v[79:80], -0.5, v[2:3]
	v_add_f64 v[2:3], v[2:3], v[47:48]
	v_add_f64 v[79:80], v[41:42], v[49:50]
	;; [unrolled: 1-line block ×12, first 2 shown]
	v_add_f64 v[80:81], v[0:1], -v[79:80]
	v_add_f64 v[82:83], v[2:3], -v[82:83]
	;; [unrolled: 1-line block ×4, first 2 shown]
	v_add_f64 v[8:9], v[0:1], v[2:3]
	v_add_f64 v[2:3], v[47:48], -v[55:56]
	v_add_f64 v[47:48], v[55:56], -v[47:48]
	;; [unrolled: 1-line block ×3, first 2 shown]
	v_add_f64 v[6:7], v[2:3], v[88:89]
	v_add_f64 v[88:89], v[49:50], -v[57:58]
	v_add_f64 v[2:3], v[45:46], -v[69:70]
	v_add_f64 v[49:50], v[49:50], v[73:74]
	v_add_f64 v[110:111], v[88:89], v[90:91]
	v_add_f64 v[88:89], v[51:52], -v[59:60]
	v_add_f64 v[90:91], v[75:76], -v[67:68]
	v_fma_f64 v[49:50], v[49:50], -0.5, v[41:42]
	v_add_f64 v[116:117], v[88:89], v[90:91]
	v_add_f64 v[88:89], v[57:58], v[65:66]
	v_add_f64 v[57:58], v[65:66], -v[73:74]
	v_add_f64 v[73:74], v[14:15], -v[39:40]
	v_fma_f64 v[118:119], v[88:89], -0.5, v[41:42]
	v_add_f64 v[88:89], v[59:60], v[67:68]
	v_add_f64 v[59:60], v[59:60], -v[51:52]
	v_add_f64 v[51:52], v[51:52], v[75:76]
	v_add_f64 v[55:56], v[55:56], v[57:58]
	v_fma_f64 v[90:91], v[102:103], s[16:17], v[118:119]
	v_fma_f64 v[96:97], v[88:89], -0.5, v[43:44]
	v_fma_f64 v[51:52], v[51:52], -0.5, v[43:44]
	v_fma_f64 v[43:44], v[112:113], s[14:15], v[49:50]
	v_fma_f64 v[49:50], v[112:113], s[16:17], v[49:50]
	;; [unrolled: 1-line block ×15, first 2 shown]
	v_mul_f64 v[92:93], v[88:89], s[12:13]
	v_mul_f64 v[88:89], v[88:89], s[22:23]
	v_fma_f64 v[114:115], v[90:91], s[22:23], v[92:93]
	v_fma_f64 v[92:93], v[2:3], s[14:15], v[108:109]
	;; [unrolled: 1-line block ×8, first 2 shown]
	v_add_f64 v[94:95], v[0:1], v[90:91]
	v_add_f64 v[90:91], v[0:1], -v[90:91]
	v_add_f64 v[0:1], v[53:54], -v[45:46]
	;; [unrolled: 1-line block ×5, first 2 shown]
	v_add_f64 v[92:93], v[88:89], v[114:115]
	v_add_f64 v[88:89], v[88:89], -v[114:115]
	v_add_f64 v[75:76], v[22:23], -v[30:31]
	v_add_f64 v[0:1], v[0:1], v[45:46]
	v_add_f64 v[57:58], v[59:60], v[61:62]
	;; [unrolled: 1-line block ×3, first 2 shown]
	v_fma_f64 v[41:42], v[57:58], s[8:9], v[41:42]
	v_fma_f64 v[51:52], v[57:58], s[8:9], v[51:52]
	v_mul_f64 v[45:46], v[41:42], s[16:17]
	v_mul_f64 v[41:42], v[41:42], s[8:9]
	;; [unrolled: 1-line block ×4, first 2 shown]
	v_fma_f64 v[59:60], v[43:44], s[8:9], v[45:46]
	v_fma_f64 v[43:44], v[43:44], s[14:15], v[41:42]
	;; [unrolled: 1-line block ×10, first 2 shown]
	v_add_f64 v[45:46], v[41:42], v[59:60]
	v_add_f64 v[41:42], v[41:42], -v[59:60]
	v_fma_f64 v[59:60], v[126:127], s[16:17], v[104:105]
	v_add_f64 v[47:48], v[61:62], v[43:44]
	v_add_f64 v[43:44], v[61:62], -v[43:44]
	v_fma_f64 v[59:60], v[4:5], s[6:7], v[59:60]
	v_fma_f64 v[4:5], v[4:5], s[14:15], v[77:78]
	v_add_f64 v[77:78], v[84:85], -v[32:33]
	v_fma_f64 v[0:1], v[0:1], s[8:9], v[59:60]
	v_fma_f64 v[59:60], v[147:148], s[14:15], v[106:107]
	;; [unrolled: 1-line block ×3, first 2 shown]
	v_add_f64 v[49:50], v[0:1], v[55:56]
	v_fma_f64 v[59:60], v[2:3], s[12:13], v[59:60]
	v_add_f64 v[104:105], v[0:1], -v[55:56]
	v_fma_f64 v[0:1], v[98:99], s[16:17], v[96:97]
	v_fma_f64 v[2:3], v[2:3], s[16:17], v[108:109]
	;; [unrolled: 1-line block ×6, first 2 shown]
	v_add_f64 v[51:52], v[53:54], v[57:58]
	v_add_f64 v[106:107], v[53:54], -v[57:58]
	v_fma_f64 v[53:54], v[102:103], s[14:15], v[118:119]
	v_fma_f64 v[0:1], v[116:117], s[8:9], v[0:1]
	;; [unrolled: 1-line block ×4, first 2 shown]
	v_mul_f64 v[8:9], v[0:1], s[12:13]
	v_mul_f64 v[0:1], v[0:1], s[20:21]
	v_fma_f64 v[6:7], v[110:111], s[8:9], v[53:54]
	v_fma_f64 v[8:9], v[6:7], s[20:21], v[8:9]
	;; [unrolled: 1-line block ×3, first 2 shown]
	v_add_f64 v[6:7], v[124:125], v[84:85]
	v_add_f64 v[116:117], v[4:5], v[8:9]
	v_add_f64 v[108:109], v[4:5], -v[8:9]
	v_add_f64 v[4:5], v[16:17], v[26:27]
	v_add_f64 v[118:119], v[2:3], v[0:1]
	v_add_f64 v[110:111], v[2:3], -v[0:1]
	ds_read_b128 v[0:3], v38 offset:3200
	v_add_f64 v[6:7], v[6:7], v[20:21]
	s_waitcnt lgkmcnt(0)
	s_barrier
	buffer_gl0_inv
	ds_write_b128 v150, v[120:123]
	ds_write_b128 v150, v[80:83] offset:800
	ds_write_b128 v150, v[92:95] offset:160
	;; [unrolled: 1-line block ×9, first 2 shown]
	v_add_f64 v[79:80], v[20:21], -v[24:25]
	v_add_f64 v[81:82], v[12:13], -v[36:37]
	;; [unrolled: 1-line block ×4, first 2 shown]
	v_fma_f64 v[53:54], v[4:5], -0.5, v[0:1]
	v_add_f64 v[4:5], v[10:11], v[34:35]
	v_add_f64 v[92:93], v[16:17], -v[26:27]
	v_add_f64 v[6:7], v[6:7], v[24:25]
	v_fma_f64 v[55:56], v[4:5], -0.5, v[0:1]
	v_add_f64 v[4:5], v[18:19], v[28:29]
	v_add_f64 v[0:1], v[0:1], v[10:11]
	;; [unrolled: 1-line block ×3, first 2 shown]
	v_fma_f64 v[57:58], v[4:5], -0.5, v[2:3]
	v_add_f64 v[4:5], v[12:13], v[36:37]
	v_add_f64 v[0:1], v[0:1], v[16:17]
	v_fma_f64 v[45:46], v[90:91], s[14:15], v[57:58]
	v_fma_f64 v[59:60], v[4:5], -0.5, v[2:3]
	v_add_f64 v[2:3], v[2:3], v[12:13]
	v_add_f64 v[4:5], v[86:87], v[14:15]
	v_add_f64 v[0:1], v[0:1], v[26:27]
	v_fma_f64 v[45:46], v[92:93], s[6:7], v[45:46]
	v_add_f64 v[2:3], v[2:3], v[18:19]
	v_add_f64 v[4:5], v[4:5], v[22:23]
	;; [unrolled: 1-line block ×9, first 2 shown]
	v_add_f64 v[41:42], v[8:9], -v[4:5]
	v_add_f64 v[43:44], v[43:44], -v[6:7]
	;; [unrolled: 1-line block ×4, first 2 shown]
	v_add_f64 v[61:62], v[4:5], v[6:7]
	v_add_f64 v[4:5], v[12:13], -v[18:19]
	v_add_f64 v[6:7], v[36:37], -v[28:29]
	v_add_f64 v[63:64], v[4:5], v[6:7]
	v_add_f64 v[4:5], v[14:15], -v[22:23]
	v_add_f64 v[6:7], v[39:40], -v[30:31]
	v_fma_f64 v[51:52], v[63:64], s[8:9], v[45:46]
	v_add_f64 v[65:66], v[4:5], v[6:7]
	v_add_f64 v[4:5], v[84:85], -v[20:21]
	v_add_f64 v[6:7], v[32:33], -v[24:25]
	v_add_f64 v[67:68], v[4:5], v[6:7]
	v_add_f64 v[4:5], v[22:23], v[30:31]
	v_fma_f64 v[69:70], v[4:5], -0.5, v[86:87]
	v_add_f64 v[4:5], v[20:21], v[24:25]
	v_fma_f64 v[6:7], v[77:78], s[16:17], v[69:70]
	v_fma_f64 v[71:72], v[4:5], -0.5, v[124:125]
	v_fma_f64 v[6:7], v[79:80], s[12:13], v[6:7]
	v_fma_f64 v[4:5], v[73:74], s[14:15], v[71:72]
	;; [unrolled: 1-line block ×5, first 2 shown]
	v_mul_f64 v[8:9], v[4:5], s[12:13]
	v_mul_f64 v[4:5], v[4:5], s[22:23]
	v_fma_f64 v[8:9], v[6:7], s[22:23], v[8:9]
	v_fma_f64 v[4:5], v[6:7], s[6:7], v[4:5]
	;; [unrolled: 1-line block ×3, first 2 shown]
	v_add_f64 v[47:48], v[51:52], v[4:5]
	v_fma_f64 v[6:7], v[88:89], s[12:13], v[6:7]
	v_add_f64 v[51:52], v[51:52], -v[4:5]
	v_add_f64 v[4:5], v[16:17], -v[10:11]
	;; [unrolled: 1-line block ×4, first 2 shown]
	v_fma_f64 v[6:7], v[61:62], s[8:9], v[6:7]
	v_add_f64 v[45:46], v[6:7], v[8:9]
	v_add_f64 v[49:50], v[6:7], -v[8:9]
	v_add_f64 v[8:9], v[18:19], -v[12:13]
	;; [unrolled: 1-line block ×3, first 2 shown]
	v_add_f64 v[20:21], v[84:85], v[32:33]
	v_add_f64 v[6:7], v[26:27], -v[34:35]
	v_add_f64 v[12:13], v[22:23], -v[14:15]
	v_add_f64 v[14:15], v[14:15], v[39:40]
	v_add_f64 v[22:23], v[24:25], -v[32:33]
	v_add_f64 v[26:27], v[8:9], v[10:11]
	v_fma_f64 v[20:21], v[20:21], -0.5, v[124:125]
	v_add_f64 v[24:25], v[4:5], v[6:7]
	v_add_f64 v[12:13], v[12:13], v[16:17]
	v_fma_f64 v[14:15], v[14:15], -0.5, v[86:87]
	v_add_f64 v[16:17], v[18:19], v[22:23]
	v_fma_f64 v[4:5], v[75:76], s[16:17], v[20:21]
	v_fma_f64 v[20:21], v[75:76], s[14:15], v[20:21]
	;; [unrolled: 1-line block ×12, first 2 shown]
	v_mul_f64 v[8:9], v[4:5], s[16:17]
	v_mul_f64 v[4:5], v[4:5], s[8:9]
	;; [unrolled: 1-line block ×4, first 2 shown]
	v_fma_f64 v[8:9], v[6:7], s[8:9], v[8:9]
	v_fma_f64 v[10:11], v[6:7], s[14:15], v[4:5]
	;; [unrolled: 1-line block ×9, first 2 shown]
	v_add_f64 v[4:5], v[18:19], v[8:9]
	v_add_f64 v[8:9], v[18:19], -v[8:9]
	v_fma_f64 v[18:19], v[88:89], s[16:17], v[55:56]
	v_add_f64 v[6:7], v[22:23], v[10:11]
	v_add_f64 v[10:11], v[22:23], -v[10:11]
	v_fma_f64 v[22:23], v[92:93], s[14:15], v[59:60]
	v_fma_f64 v[18:19], v[81:82], s[6:7], v[18:19]
	;; [unrolled: 1-line block ×7, first 2 shown]
	v_add_f64 v[12:13], v[18:19], v[20:21]
	v_add_f64 v[16:17], v[18:19], -v[20:21]
	v_fma_f64 v[20:21], v[73:74], s[16:17], v[71:72]
	v_add_f64 v[14:15], v[22:23], v[24:25]
	v_add_f64 v[18:19], v[22:23], -v[24:25]
	v_fma_f64 v[22:23], v[81:82], s[14:15], v[53:54]
	v_fma_f64 v[24:25], v[90:91], s[16:17], v[57:58]
	;; [unrolled: 1-line block ×10, first 2 shown]
	v_mul_f64 v[24:25], v[20:21], s[12:13]
	v_mul_f64 v[20:21], v[20:21], s[20:21]
	v_fma_f64 v[24:25], v[22:23], s[20:21], v[24:25]
	v_fma_f64 v[26:27], v[22:23], s[6:7], v[20:21]
	v_add_f64 v[20:21], v[28:29], v[24:25]
	v_add_f64 v[22:23], v[30:31], v[26:27]
	v_add_f64 v[24:25], v[28:29], -v[24:25]
	v_add_f64 v[26:27], v[30:31], -v[26:27]
	ds_write_b128 v128, v[0:3]
	ds_write_b128 v128, v[45:48] offset:160
	ds_write_b128 v128, v[4:7] offset:320
	;; [unrolled: 1-line block ×9, first 2 shown]
	s_waitcnt lgkmcnt(0)
	s_barrier
	buffer_gl0_inv
	ds_read_b128 v[0:3], v38 offset:6400
	s_clause 0x3
	buffer_load_dword v6, off, s[28:31], 0 offset:524
	buffer_load_dword v7, off, s[28:31], 0 offset:528
	buffer_load_dword v8, off, s[28:31], 0 offset:532
	buffer_load_dword v9, off, s[28:31], 0 offset:536
	s_waitcnt vmcnt(0) lgkmcnt(0)
	v_mul_f64 v[4:5], v[8:9], v[2:3]
	v_fma_f64 v[41:42], v[6:7], v[0:1], v[4:5]
	v_mul_f64 v[0:1], v[8:9], v[0:1]
	v_fma_f64 v[43:44], v[6:7], v[2:3], -v[0:1]
	ds_read_b128 v[0:3], v38 offset:12800
	s_clause 0x3
	buffer_load_dword v6, off, s[28:31], 0 offset:540
	buffer_load_dword v7, off, s[28:31], 0 offset:544
	buffer_load_dword v8, off, s[28:31], 0 offset:548
	buffer_load_dword v9, off, s[28:31], 0 offset:552
	s_waitcnt vmcnt(0) lgkmcnt(0)
	v_mul_f64 v[4:5], v[8:9], v[2:3]
	v_fma_f64 v[45:46], v[6:7], v[0:1], v[4:5]
	v_mul_f64 v[0:1], v[8:9], v[0:1]
	v_fma_f64 v[47:48], v[6:7], v[2:3], -v[0:1]
	;; [unrolled: 11-line block ×3, first 2 shown]
	ds_read_b128 v[0:3], v38 offset:25600
	s_waitcnt lgkmcnt(0)
	v_mul_f64 v[4:5], v[166:167], v[2:3]
	v_add_f64 v[81:82], v[43:44], v[51:52]
	v_fma_f64 v[53:54], v[164:165], v[0:1], v[4:5]
	v_mul_f64 v[0:1], v[166:167], v[0:1]
	v_fma_f64 v[55:56], v[164:165], v[2:3], -v[0:1]
	ds_read_b128 v[0:3], v38 offset:32000
	s_waitcnt lgkmcnt(0)
	v_mul_f64 v[4:5], v[170:171], v[2:3]
	v_fma_f64 v[57:58], v[168:169], v[0:1], v[4:5]
	v_mul_f64 v[0:1], v[170:171], v[0:1]
	v_fma_f64 v[59:60], v[168:169], v[2:3], -v[0:1]
	ds_read_b128 v[0:3], v38 offset:38400
	s_waitcnt lgkmcnt(0)
	v_mul_f64 v[4:5], v[174:175], v[2:3]
	v_add_f64 v[81:82], v[81:82], v[59:60]
	v_fma_f64 v[61:62], v[172:173], v[0:1], v[4:5]
	v_mul_f64 v[0:1], v[174:175], v[0:1]
	v_add_f64 v[77:78], v[53:54], v[61:62]
	v_fma_f64 v[63:64], v[172:173], v[2:3], -v[0:1]
	ds_read_b128 v[0:3], v38 offset:44800
	v_add_f64 v[168:169], v[53:54], -v[61:62]
	s_waitcnt lgkmcnt(0)
	v_mul_f64 v[4:5], v[178:179], v[2:3]
	v_add_f64 v[164:165], v[55:56], -v[63:64]
	v_fma_f64 v[65:66], v[176:177], v[0:1], v[4:5]
	v_mul_f64 v[0:1], v[178:179], v[0:1]
	v_add_f64 v[124:125], v[57:58], -v[65:66]
	v_fma_f64 v[67:68], v[176:177], v[2:3], -v[0:1]
	ds_read_b128 v[0:3], v38 offset:51200
	s_waitcnt lgkmcnt(0)
	v_mul_f64 v[4:5], v[182:183], v[2:3]
	v_add_f64 v[81:82], v[81:82], v[67:68]
	v_add_f64 v[145:146], v[59:60], -v[67:68]
	v_fma_f64 v[69:70], v[180:181], v[0:1], v[4:5]
	v_mul_f64 v[0:1], v[182:183], v[0:1]
	v_add_f64 v[79:80], v[45:46], v[69:70]
	v_fma_f64 v[71:72], v[180:181], v[2:3], -v[0:1]
	ds_read_b128 v[0:3], v38 offset:57600
	v_add_f64 v[166:167], v[45:46], -v[69:70]
	s_waitcnt lgkmcnt(0)
	v_mul_f64 v[4:5], v[186:187], v[2:3]
	v_add_f64 v[88:89], v[71:72], -v[63:64]
	v_add_f64 v[147:148], v[47:48], -v[71:72]
	v_fma_f64 v[73:74], v[184:185], v[0:1], v[4:5]
	v_mul_f64 v[0:1], v[186:187], v[0:1]
	v_add_f64 v[90:91], v[73:74], -v[65:66]
	v_fma_f64 v[75:76], v[184:185], v[2:3], -v[0:1]
	ds_read_b128 v[0:3], v38 offset:9600
	v_add_f64 v[122:123], v[49:50], -v[73:74]
	s_waitcnt lgkmcnt(0)
	v_mul_f64 v[4:5], v[190:191], v[2:3]
	v_add_f64 v[82:83], v[81:82], v[75:76]
	v_add_f64 v[126:127], v[51:52], -v[75:76]
	v_fma_f64 v[4:5], v[188:189], v[0:1], v[4:5]
	v_mul_f64 v[0:1], v[190:191], v[0:1]
	v_fma_f64 v[6:7], v[188:189], v[2:3], -v[0:1]
	ds_read_b128 v[0:3], v38 offset:16000
	s_waitcnt lgkmcnt(0)
	v_mul_f64 v[8:9], v[194:195], v[2:3]
	v_fma_f64 v[10:11], v[192:193], v[0:1], v[8:9]
	v_mul_f64 v[0:1], v[194:195], v[0:1]
	v_fma_f64 v[12:13], v[192:193], v[2:3], -v[0:1]
	ds_read_b128 v[0:3], v38 offset:22400
	s_waitcnt lgkmcnt(0)
	v_mul_f64 v[8:9], v[198:199], v[2:3]
	;; [unrolled: 6-line block ×8, first 2 shown]
	v_fma_f64 v[39:40], v[220:221], v[0:1], v[32:33]
	v_mul_f64 v[0:1], v[222:223], v[0:1]
	v_fma_f64 v[32:33], v[220:221], v[2:3], -v[0:1]
	ds_read_b128 v[0:3], v38
	s_waitcnt lgkmcnt(0)
	v_fma_f64 v[104:105], v[79:80], -0.5, v[0:1]
	v_add_f64 v[79:80], v[55:56], v[63:64]
	v_fma_f64 v[77:78], v[77:78], -0.5, v[0:1]
	v_add_f64 v[0:1], v[0:1], v[45:46]
	;; [unrolled: 2-line block ×3, first 2 shown]
	v_add_f64 v[0:1], v[0:1], v[53:54]
	v_fma_f64 v[106:107], v[79:80], -0.5, v[2:3]
	v_add_f64 v[2:3], v[2:3], v[47:48]
	v_add_f64 v[79:80], v[41:42], v[49:50]
	;; [unrolled: 1-line block ×12, first 2 shown]
	v_add_f64 v[80:81], v[0:1], -v[79:80]
	v_add_f64 v[82:83], v[2:3], -v[82:83]
	;; [unrolled: 1-line block ×7, first 2 shown]
	v_add_f64 v[0:1], v[0:1], v[2:3]
	v_add_f64 v[2:3], v[47:48], -v[55:56]
	v_add_f64 v[47:48], v[55:56], -v[47:48]
	;; [unrolled: 1-line block ×4, first 2 shown]
	v_add_f64 v[45:46], v[45:46], v[53:54]
	v_add_f64 v[2:3], v[2:3], v[88:89]
	v_add_f64 v[88:89], v[49:50], -v[57:58]
	v_add_f64 v[47:48], v[47:48], v[55:56]
	v_add_f64 v[114:115], v[88:89], v[90:91]
	v_add_f64 v[88:89], v[51:52], -v[59:60]
	v_add_f64 v[90:91], v[75:76], -v[67:68]
	v_add_f64 v[116:117], v[88:89], v[90:91]
	v_add_f64 v[88:89], v[57:58], v[65:66]
	v_add_f64 v[57:58], v[57:58], -v[49:50]
	v_add_f64 v[49:50], v[49:50], v[73:74]
	v_add_f64 v[73:74], v[14:15], -v[39:40]
	v_fma_f64 v[118:119], v[88:89], -0.5, v[41:42]
	v_add_f64 v[88:89], v[59:60], v[67:68]
	v_add_f64 v[59:60], v[59:60], -v[51:52]
	v_add_f64 v[51:52], v[51:52], v[75:76]
	v_fma_f64 v[41:42], v[49:50], -0.5, v[41:42]
	v_add_f64 v[49:50], v[57:58], v[61:62]
	v_add_f64 v[75:76], v[22:23], -v[30:31]
	v_fma_f64 v[90:91], v[126:127], s[16:17], v[118:119]
	v_fma_f64 v[120:121], v[88:89], -0.5, v[43:44]
	v_fma_f64 v[43:44], v[51:52], -0.5, v[43:44]
	v_add_f64 v[51:52], v[59:60], v[63:64]
	v_fma_f64 v[55:56], v[145:146], s[14:15], v[41:42]
	v_fma_f64 v[59:60], v[168:169], s[16:17], v[106:107]
	;; [unrolled: 1-line block ×20, first 2 shown]
	v_mul_f64 v[92:93], v[88:89], s[12:13]
	v_mul_f64 v[88:89], v[88:89], s[22:23]
	;; [unrolled: 1-line block ×6, first 2 shown]
	v_fma_f64 v[96:97], v[90:91], s[22:23], v[92:93]
	v_fma_f64 v[92:93], v[166:167], s[14:15], v[112:113]
	;; [unrolled: 1-line block ×10, first 2 shown]
	v_add_f64 v[77:78], v[8:9], -v[32:33]
	v_fma_f64 v[92:93], v[168:169], s[6:7], v[92:93]
	v_add_f64 v[102:103], v[59:60], v[53:54]
	v_fma_f64 v[55:56], v[147:148], s[12:13], v[55:56]
	v_fma_f64 v[88:89], v[164:165], s[12:13], v[88:89]
	;; [unrolled: 1-line block ×7, first 2 shown]
	v_add_f64 v[94:95], v[98:99], v[90:91]
	v_add_f64 v[90:91], v[98:99], -v[90:91]
	v_add_f64 v[98:99], v[59:60], -v[53:54]
	v_fma_f64 v[53:54], v[164:165], s[16:17], v[104:105]
	v_add_f64 v[100:101], v[55:56], v[57:58]
	v_add_f64 v[92:93], v[88:89], v[96:97]
	v_add_f64 v[88:89], v[88:89], -v[96:97]
	v_add_f64 v[96:97], v[55:56], -v[57:58]
	v_fma_f64 v[53:54], v[147:148], s[6:7], v[53:54]
	v_fma_f64 v[45:46], v[45:46], s[8:9], v[53:54]
	;; [unrolled: 1-line block ×3, first 2 shown]
	v_add_f64 v[108:109], v[45:46], v[49:50]
	v_fma_f64 v[53:54], v[166:167], s[12:13], v[53:54]
	v_add_f64 v[104:105], v[45:46], -v[49:50]
	v_fma_f64 v[45:46], v[166:167], s[16:17], v[112:113]
	v_fma_f64 v[47:48], v[47:48], s[8:9], v[53:54]
	;; [unrolled: 1-line block ×3, first 2 shown]
	v_add_f64 v[110:111], v[47:48], v[41:42]
	v_add_f64 v[106:107], v[47:48], -v[41:42]
	v_fma_f64 v[41:42], v[122:123], s[16:17], v[120:121]
	v_fma_f64 v[47:48], v[126:127], s[14:15], v[118:119]
	;; [unrolled: 1-line block ×7, first 2 shown]
	v_mul_f64 v[45:46], v[41:42], s[12:13]
	v_mul_f64 v[41:42], v[41:42], s[20:21]
	v_fma_f64 v[45:46], v[43:44], s[20:21], v[45:46]
	v_fma_f64 v[41:42], v[43:44], s[6:7], v[41:42]
	v_add_f64 v[43:44], v[6:7], v[8:9]
	v_add_f64 v[116:117], v[0:1], v[45:46]
	;; [unrolled: 1-line block ×3, first 2 shown]
	v_add_f64 v[114:115], v[2:3], -v[41:42]
	v_add_f64 v[41:42], v[16:17], v[26:27]
	v_add_f64 v[112:113], v[0:1], -v[45:46]
	ds_read_b128 v[0:3], v38 offset:3200
	v_add_f64 v[43:44], v[43:44], v[20:21]
	s_waitcnt lgkmcnt(0)
	s_barrier
	buffer_gl0_inv
	ds_write_b128 v149, v[84:87]
	ds_write_b128 v149, v[80:83] offset:8000
	ds_write_b128 v149, v[92:95] offset:1600
	;; [unrolled: 1-line block ×9, first 2 shown]
	v_add_f64 v[79:80], v[20:21], -v[24:25]
	v_add_f64 v[81:82], v[12:13], -v[36:37]
	;; [unrolled: 1-line block ×5, first 2 shown]
	v_fma_f64 v[53:54], v[41:42], -0.5, v[0:1]
	v_add_f64 v[41:42], v[10:11], v[34:35]
	v_add_f64 v[43:44], v[43:44], v[24:25]
	v_fma_f64 v[55:56], v[41:42], -0.5, v[0:1]
	v_add_f64 v[41:42], v[18:19], v[28:29]
	v_add_f64 v[0:1], v[0:1], v[10:11]
	v_add_f64 v[43:44], v[43:44], v[32:33]
	v_fma_f64 v[57:58], v[41:42], -0.5, v[2:3]
	v_add_f64 v[41:42], v[12:13], v[36:37]
	v_add_f64 v[0:1], v[0:1], v[16:17]
	v_fma_f64 v[59:60], v[41:42], -0.5, v[2:3]
	v_add_f64 v[2:3], v[2:3], v[12:13]
	v_add_f64 v[41:42], v[4:5], v[14:15]
	;; [unrolled: 1-line block ×12, first 2 shown]
	v_add_f64 v[41:42], v[45:46], -v[41:42]
	v_add_f64 v[43:44], v[47:48], -v[43:44]
	v_add_f64 v[45:46], v[10:11], -v[16:17]
	v_add_f64 v[47:48], v[34:35], -v[26:27]
	v_add_f64 v[10:11], v[16:17], -v[10:11]
	v_add_f64 v[16:17], v[26:27], -v[34:35]
	v_add_f64 v[26:27], v[30:31], -v[39:40]
	v_add_f64 v[61:62], v[45:46], v[47:48]
	v_add_f64 v[45:46], v[12:13], -v[18:19]
	v_add_f64 v[47:48], v[36:37], -v[28:29]
	v_add_f64 v[12:13], v[18:19], -v[12:13]
	v_add_f64 v[18:19], v[28:29], -v[36:37]
	v_add_f64 v[16:17], v[10:11], v[16:17]
	v_add_f64 v[63:64], v[45:46], v[47:48]
	v_add_f64 v[45:46], v[14:15], -v[22:23]
	v_add_f64 v[47:48], v[39:40], -v[30:31]
	v_add_f64 v[12:13], v[12:13], v[18:19]
	v_add_f64 v[65:66], v[45:46], v[47:48]
	v_add_f64 v[45:46], v[8:9], -v[20:21]
	v_add_f64 v[47:48], v[32:33], -v[24:25]
	v_add_f64 v[67:68], v[45:46], v[47:48]
	v_add_f64 v[45:46], v[22:23], v[30:31]
	v_add_f64 v[22:23], v[22:23], -v[14:15]
	v_add_f64 v[14:15], v[14:15], v[39:40]
	v_fma_f64 v[69:70], v[45:46], -0.5, v[4:5]
	v_add_f64 v[45:46], v[20:21], v[24:25]
	v_add_f64 v[20:21], v[20:21], -v[8:9]
	v_add_f64 v[8:9], v[8:9], v[32:33]
	v_add_f64 v[24:25], v[24:25], -v[32:33]
	v_fma_f64 v[14:15], v[14:15], -0.5, v[4:5]
	v_add_f64 v[18:19], v[22:23], v[26:27]
	v_fma_f64 v[47:48], v[77:78], s[16:17], v[69:70]
	v_fma_f64 v[71:72], v[45:46], -0.5, v[6:7]
	v_fma_f64 v[26:27], v[77:78], s[14:15], v[69:70]
	v_fma_f64 v[28:29], v[8:9], -0.5, v[6:7]
	v_add_f64 v[20:21], v[20:21], v[24:25]
	v_fma_f64 v[6:7], v[79:80], s[14:15], v[14:15]
	v_fma_f64 v[14:15], v[79:80], s[16:17], v[14:15]
	;; [unrolled: 1-line block ×15, first 2 shown]
	v_mul_f64 v[49:50], v[45:46], s[12:13]
	v_mul_f64 v[45:46], v[45:46], s[22:23]
	;; [unrolled: 1-line block ×4, first 2 shown]
	v_fma_f64 v[49:50], v[47:48], s[22:23], v[49:50]
	v_fma_f64 v[51:52], v[47:48], s[6:7], v[45:46]
	v_fma_f64 v[8:9], v[6:7], s[8:9], v[8:9]
	v_fma_f64 v[10:11], v[6:7], s[14:15], v[4:5]
	v_fma_f64 v[4:5], v[83:84], s[14:15], v[55:56]
	v_fma_f64 v[6:7], v[87:88], s[16:17], v[59:60]
	v_fma_f64 v[45:46], v[81:82], s[16:17], v[53:54]
	v_fma_f64 v[47:48], v[85:86], s[14:15], v[57:58]
	v_fma_f64 v[4:5], v[81:82], s[12:13], v[4:5]
	v_fma_f64 v[6:7], v[85:86], s[6:7], v[6:7]
	v_fma_f64 v[45:46], v[83:84], s[12:13], v[45:46]
	v_fma_f64 v[47:48], v[87:88], s[6:7], v[47:48]
	v_fma_f64 v[22:23], v[16:17], s[8:9], v[4:5]
	v_fma_f64 v[24:25], v[12:13], s[8:9], v[6:7]
	v_fma_f64 v[89:90], v[61:62], s[8:9], v[45:46]
	v_fma_f64 v[91:92], v[63:64], s[8:9], v[47:48]
	v_add_f64 v[4:5], v[22:23], v[8:9]
	v_add_f64 v[8:9], v[22:23], -v[8:9]
	v_fma_f64 v[22:23], v[83:84], s[16:17], v[55:56]
	v_add_f64 v[6:7], v[24:25], v[10:11]
	v_add_f64 v[10:11], v[24:25], -v[10:11]
	v_fma_f64 v[24:25], v[85:86], s[16:17], v[57:58]
	v_add_f64 v[45:46], v[89:90], v[49:50]
	v_add_f64 v[47:48], v[91:92], v[51:52]
	v_add_f64 v[49:50], v[89:90], -v[49:50]
	v_add_f64 v[51:52], v[91:92], -v[51:52]
	v_fma_f64 v[22:23], v[81:82], s[6:7], v[22:23]
	v_fma_f64 v[24:25], v[87:88], s[12:13], v[24:25]
	;; [unrolled: 1-line block ×10, first 2 shown]
	v_mul_f64 v[18:19], v[12:13], s[16:17]
	v_mul_f64 v[12:13], v[12:13], s[18:19]
	v_fma_f64 v[18:19], v[14:15], s[18:19], v[18:19]
	v_fma_f64 v[20:21], v[14:15], s[14:15], v[12:13]
	v_add_f64 v[12:13], v[16:17], v[18:19]
	v_add_f64 v[14:15], v[22:23], v[20:21]
	v_add_f64 v[16:17], v[16:17], -v[18:19]
	v_add_f64 v[18:19], v[22:23], -v[20:21]
	v_fma_f64 v[20:21], v[73:74], s[16:17], v[71:72]
	v_fma_f64 v[22:23], v[81:82], s[14:15], v[53:54]
	;; [unrolled: 1-line block ×7, first 2 shown]
	v_mul_f64 v[24:25], v[20:21], s[12:13]
	v_mul_f64 v[20:21], v[20:21], s[20:21]
	v_fma_f64 v[24:25], v[22:23], s[20:21], v[24:25]
	v_fma_f64 v[26:27], v[22:23], s[6:7], v[20:21]
	s_mul_hi_u32 s6, s0, 0x1900
	v_add_f64 v[20:21], v[28:29], v[24:25]
	v_add_f64 v[22:23], v[30:31], v[26:27]
	v_add_f64 v[24:25], v[28:29], -v[24:25]
	v_add_f64 v[26:27], v[30:31], -v[26:27]
	ds_write_b128 v151, v[0:3]
	ds_write_b128 v151, v[45:48] offset:1600
	ds_write_b128 v151, v[4:7] offset:3200
	;; [unrolled: 1-line block ×9, first 2 shown]
	s_waitcnt lgkmcnt(0)
	s_barrier
	buffer_gl0_inv
	ds_read_b128 v[0:3], v38 offset:16000
	s_waitcnt lgkmcnt(0)
	v_mul_f64 v[4:5], v[230:231], v[2:3]
	v_fma_f64 v[24:25], v[228:229], v[0:1], v[4:5]
	v_mul_f64 v[0:1], v[230:231], v[0:1]
	v_fma_f64 v[26:27], v[228:229], v[2:3], -v[0:1]
	ds_read_b128 v[0:3], v38 offset:32000
	s_waitcnt lgkmcnt(0)
	v_mul_f64 v[4:5], v[234:235], v[2:3]
	v_fma_f64 v[4:5], v[232:233], v[0:1], v[4:5]
	v_mul_f64 v[0:1], v[234:235], v[0:1]
	v_fma_f64 v[6:7], v[232:233], v[2:3], -v[0:1]
	ds_read_b128 v[0:3], v38 offset:48000
	s_waitcnt lgkmcnt(0)
	v_mul_f64 v[8:9], v[238:239], v[2:3]
	v_fma_f64 v[8:9], v[236:237], v[0:1], v[8:9]
	v_mul_f64 v[0:1], v[238:239], v[0:1]
	v_add_f64 v[71:72], v[24:25], -v[8:9]
	v_fma_f64 v[10:11], v[236:237], v[2:3], -v[0:1]
	ds_read_b128 v[0:3], v38 offset:19200
	s_waitcnt lgkmcnt(0)
	v_mul_f64 v[12:13], v[226:227], v[2:3]
	v_add_f64 v[69:70], v[26:27], -v[10:11]
	v_fma_f64 v[28:29], v[224:225], v[0:1], v[12:13]
	v_mul_f64 v[0:1], v[226:227], v[0:1]
	v_fma_f64 v[30:31], v[224:225], v[2:3], -v[0:1]
	ds_read_b128 v[0:3], v38 offset:35200
	s_waitcnt lgkmcnt(0)
	v_mul_f64 v[12:13], v[246:247], v[2:3]
	v_fma_f64 v[12:13], v[244:245], v[0:1], v[12:13]
	v_mul_f64 v[0:1], v[246:247], v[0:1]
	v_fma_f64 v[14:15], v[244:245], v[2:3], -v[0:1]
	ds_read_b128 v[0:3], v38 offset:51200
	s_waitcnt lgkmcnt(0)
	v_mul_f64 v[16:17], v[250:251], v[2:3]
	v_fma_f64 v[16:17], v[248:249], v[0:1], v[16:17]
	v_mul_f64 v[0:1], v[250:251], v[0:1]
	v_add_f64 v[79:80], v[28:29], -v[16:17]
	v_fma_f64 v[18:19], v[248:249], v[2:3], -v[0:1]
	ds_read_b128 v[0:3], v38 offset:22400
	s_waitcnt lgkmcnt(0)
	v_mul_f64 v[20:21], v[254:255], v[2:3]
	v_add_f64 v[77:78], v[30:31], -v[18:19]
	;; [unrolled: 20-line block ×4, first 2 shown]
	v_fma_f64 v[53:54], v[240:241], v[0:1], v[53:54]
	v_mul_f64 v[0:1], v[242:243], v[0:1]
	v_fma_f64 v[55:56], v[240:241], v[2:3], -v[0:1]
	ds_read_b128 v[0:3], v38 offset:44800
	s_waitcnt lgkmcnt(0)
	v_mul_f64 v[57:58], v[135:136], v[2:3]
	v_fma_f64 v[57:58], v[133:134], v[0:1], v[57:58]
	v_mul_f64 v[0:1], v[135:136], v[0:1]
	v_fma_f64 v[59:60], v[133:134], v[2:3], -v[0:1]
	ds_read_b128 v[0:3], v38 offset:60800
	s_waitcnt lgkmcnt(0)
	v_mul_f64 v[61:62], v[131:132], v[2:3]
	v_fma_f64 v[61:62], v[129:130], v[0:1], v[61:62]
	v_mul_f64 v[0:1], v[131:132], v[0:1]
	v_add_f64 v[61:62], v[53:54], -v[61:62]
	v_fma_f64 v[63:64], v[129:130], v[2:3], -v[0:1]
	ds_read_b128 v[0:3], v38
	s_waitcnt lgkmcnt(0)
	v_add_f64 v[4:5], v[0:1], -v[4:5]
	v_add_f64 v[6:7], v[2:3], -v[6:7]
	;; [unrolled: 1-line block ×3, first 2 shown]
	v_fma_f64 v[65:66], v[0:1], 2.0, -v[4:5]
	v_fma_f64 v[67:68], v[2:3], 2.0, -v[6:7]
	v_add_f64 v[0:1], v[4:5], v[69:70]
	v_add_f64 v[2:3], v[6:7], -v[71:72]
	v_fma_f64 v[4:5], v[4:5], 2.0, -v[0:1]
	v_fma_f64 v[6:7], v[6:7], 2.0, -v[2:3]
	ds_write_b128 v38, v[0:3] offset:48000
	ds_read_b128 v[0:3], v38 offset:3200
	s_waitcnt lgkmcnt(0)
	v_add_f64 v[8:9], v[0:1], -v[12:13]
	v_add_f64 v[10:11], v[2:3], -v[14:15]
	v_fma_f64 v[73:74], v[0:1], 2.0, -v[8:9]
	v_fma_f64 v[75:76], v[2:3], 2.0, -v[10:11]
	v_add_f64 v[0:1], v[8:9], v[77:78]
	v_add_f64 v[2:3], v[10:11], -v[79:80]
	v_fma_f64 v[8:9], v[8:9], 2.0, -v[0:1]
	v_fma_f64 v[10:11], v[10:11], 2.0, -v[2:3]
	ds_write_b128 v38, v[0:3] offset:51200
	ds_read_b128 v[0:3], v38 offset:6400
	s_waitcnt lgkmcnt(0)
	v_add_f64 v[12:13], v[0:1], -v[20:21]
	v_add_f64 v[14:15], v[2:3], -v[22:23]
	;; [unrolled: 11-line block ×4, first 2 shown]
	v_fma_f64 v[57:58], v[0:1], 2.0, -v[20:21]
	v_fma_f64 v[59:60], v[2:3], 2.0, -v[22:23]
	v_add_f64 v[0:1], v[20:21], v[63:64]
	v_add_f64 v[2:3], v[22:23], -v[61:62]
	ds_write_b128 v38, v[0:3] offset:60800
	ds_write_b128 v38, v[4:7] offset:16000
	v_fma_f64 v[20:21], v[20:21], 2.0, -v[0:1]
	v_fma_f64 v[22:23], v[22:23], 2.0, -v[2:3]
	v_fma_f64 v[0:1], v[24:25], 2.0, -v[71:72]
	v_fma_f64 v[2:3], v[26:27], 2.0, -v[69:70]
	v_add_f64 v[0:1], v[65:66], -v[0:1]
	v_add_f64 v[2:3], v[67:68], -v[2:3]
	ds_write_b128 v38, v[0:3] offset:32000
	ds_write_b128 v38, v[8:11] offset:19200
	v_fma_f64 v[4:5], v[65:66], 2.0, -v[0:1]
	v_fma_f64 v[6:7], v[67:68], 2.0, -v[2:3]
	v_fma_f64 v[0:1], v[28:29], 2.0, -v[79:80]
	v_fma_f64 v[2:3], v[30:31], 2.0, -v[77:78]
	v_add_f64 v[0:1], v[73:74], -v[0:1]
	;; [unrolled: 8-line block ×5, first 2 shown]
	v_add_f64 v[2:3], v[59:60], -v[2:3]
	v_fma_f64 v[20:21], v[57:58], 2.0, -v[0:1]
	v_fma_f64 v[22:23], v[59:60], 2.0, -v[2:3]
	ds_write_b128 v38, v[0:3] offset:44800
	ds_write_b128 v38, v[4:7]
	ds_write_b128 v38, v[8:11] offset:3200
	ds_write_b128 v38, v[12:15] offset:6400
	;; [unrolled: 1-line block ×4, first 2 shown]
	s_waitcnt lgkmcnt(0)
	s_barrier
	buffer_gl0_inv
	ds_read_b128 v[2:5], v38
	s_clause 0x3
	buffer_load_dword v6, off, s[28:31], 0 offset:312
	buffer_load_dword v7, off, s[28:31], 0 offset:316
	buffer_load_dword v8, off, s[28:31], 0 offset:320
	buffer_load_dword v9, off, s[28:31], 0 offset:324
	s_waitcnt vmcnt(0) lgkmcnt(0)
	v_mul_f64 v[0:1], v[8:9], v[4:5]
	v_fma_f64 v[0:1], v[6:7], v[2:3], v[0:1]
	v_mul_f64 v[2:3], v[8:9], v[2:3]
	v_fma_f64 v[2:3], v[6:7], v[4:5], -v[2:3]
	ds_read_b128 v[4:7], v38 offset:6400
	s_clause 0x3
	buffer_load_dword v10, off, s[28:31], 0 offset:248
	buffer_load_dword v11, off, s[28:31], 0 offset:252
	buffer_load_dword v12, off, s[28:31], 0 offset:256
	buffer_load_dword v13, off, s[28:31], 0 offset:260
	s_waitcnt vmcnt(0) lgkmcnt(0)
	v_mul_f64 v[8:9], v[12:13], v[6:7]
	v_fma_f64 v[8:9], v[10:11], v[4:5], v[8:9]
	v_mul_f64 v[4:5], v[12:13], v[4:5]
	v_fma_f64 v[10:11], v[10:11], v[6:7], -v[4:5]
	ds_read_b128 v[4:7], v38 offset:12800
	;; [unrolled: 11-line block ×10, first 2 shown]
	s_clause 0x3
	buffer_load_dword v47, off, s[28:31], 0 offset:200
	buffer_load_dword v48, off, s[28:31], 0 offset:204
	;; [unrolled: 1-line block ×4, first 2 shown]
	s_waitcnt vmcnt(0) lgkmcnt(0)
	v_mul_f64 v[45:46], v[49:50], v[6:7]
	v_fma_f64 v[45:46], v[47:48], v[4:5], v[45:46]
	v_mul_f64 v[4:5], v[49:50], v[4:5]
	v_fma_f64 v[47:48], v[47:48], v[6:7], -v[4:5]
	s_clause 0x2
	buffer_load_dword v6, off, s[28:31], 0
	buffer_load_dword v7, off, s[28:31], 0 offset:4
	buffer_load_dword v49, off, s[28:31], 0 offset:328
	s_waitcnt vmcnt(2)
	v_mad_u64_u32 v[4:5], null, s2, v6, 0
	v_mad_u64_u32 v[5:6], null, s3, v6, v[5:6]
	s_load_dwordx2 s[2:3], s[4:5], 0x38
	s_waitcnt vmcnt(0)
	v_mad_u64_u32 v[6:7], null, s0, v49, 0
	s_mul_i32 s4, s1, 0x1900
	s_mul_i32 s5, s0, 0x1900
	s_add_i32 s4, s6, s4
	v_lshlrev_b64 v[4:5], 4, v[4:5]
	v_mad_u64_u32 v[49:50], null, s1, v49, v[7:8]
	s_mul_i32 s1, s1, 0xffff2b80
	v_mov_b32_e32 v7, v49
	s_waitcnt lgkmcnt(0)
	v_add_co_u32 v49, vcc_lo, s2, v4
	v_add_co_ci_u32_e32 v50, vcc_lo, s3, v5, vcc_lo
	s_mov_b32 s2, 0xd2f1a9fc
	s_mov_b32 s3, 0x3f30624d
	v_lshlrev_b64 v[4:5], 4, v[6:7]
	v_mul_f64 v[0:1], v[0:1], s[2:3]
	v_mul_f64 v[2:3], v[2:3], s[2:3]
	;; [unrolled: 1-line block ×4, first 2 shown]
	v_add_co_u32 v4, vcc_lo, v49, v4
	v_add_co_ci_u32_e32 v5, vcc_lo, v50, v5, vcc_lo
	global_store_dwordx4 v[4:5], v[0:3], off
	v_mul_f64 v[0:1], v[8:9], s[2:3]
	v_mul_f64 v[2:3], v[10:11], s[2:3]
	v_add_co_u32 v4, vcc_lo, v4, s5
	v_add_co_ci_u32_e32 v5, vcc_lo, s4, v5, vcc_lo
	v_mul_f64 v[10:11], v[34:35], s[2:3]
	global_store_dwordx4 v[4:5], v[0:3], off
	v_mul_f64 v[0:1], v[12:13], s[2:3]
	v_mul_f64 v[2:3], v[14:15], s[2:3]
	v_add_co_u32 v4, vcc_lo, v4, s5
	v_add_co_ci_u32_e32 v5, vcc_lo, s4, v5, vcc_lo
	global_store_dwordx4 v[4:5], v[0:3], off
	v_mul_f64 v[0:1], v[16:17], s[2:3]
	v_mul_f64 v[2:3], v[18:19], s[2:3]
	v_add_co_u32 v4, vcc_lo, v4, s5
	v_add_co_ci_u32_e32 v5, vcc_lo, s4, v5, vcc_lo
	v_add_co_u32 v8, vcc_lo, v4, s5
	v_add_co_ci_u32_e32 v9, vcc_lo, s4, v5, vcc_lo
	;; [unrolled: 2-line block ×4, first 2 shown]
	global_store_dwordx4 v[4:5], v[0:3], off
	v_mul_f64 v[0:1], v[20:21], s[2:3]
	v_mul_f64 v[2:3], v[22:23], s[2:3]
	;; [unrolled: 1-line block ×3, first 2 shown]
	global_store_dwordx4 v[8:9], v[0:3], off
	ds_read_b128 v[0:3], v38 offset:9600
	s_clause 0x3
	buffer_load_dword v22, off, s[28:31], 0 offset:216
	buffer_load_dword v23, off, s[28:31], 0 offset:220
	;; [unrolled: 1-line block ×4, first 2 shown]
	global_store_dwordx4 v[12:13], v[4:7], off
	v_mul_f64 v[4:5], v[28:29], s[2:3]
	v_mul_f64 v[6:7], v[30:31], s[2:3]
	;; [unrolled: 1-line block ×5, first 2 shown]
	global_store_dwordx4 v[18:19], v[4:7], off
	s_waitcnt vmcnt(0) lgkmcnt(0)
	v_mul_f64 v[16:17], v[24:25], v[0:1]
	v_mul_f64 v[14:15], v[24:25], v[2:3]
	v_fma_f64 v[30:31], v[22:23], v[2:3], -v[16:17]
	v_add_co_u32 v16, vcc_lo, v18, s5
	v_add_co_ci_u32_e32 v17, vcc_lo, s4, v19, vcc_lo
	v_fma_f64 v[20:21], v[22:23], v[0:1], v[14:15]
	v_add_co_u32 v4, vcc_lo, v16, s5
	global_store_dwordx4 v[16:17], v[8:11], off
	ds_read_b128 v[0:3], v38 offset:16000
	ds_read_b128 v[22:25], v38 offset:22400
	v_add_co_ci_u32_e32 v5, vcc_lo, s4, v17, vcc_lo
	s_clause 0x3
	buffer_load_dword v16, off, s[28:31], 0 offset:232
	buffer_load_dword v17, off, s[28:31], 0 offset:236
	;; [unrolled: 1-line block ×4, first 2 shown]
	v_mul_f64 v[14:15], v[39:40], s[2:3]
	v_add_co_u32 v6, vcc_lo, v4, s5
	v_add_co_ci_u32_e32 v7, vcc_lo, s4, v5, vcc_lo
	v_mad_u64_u32 v[43:44], null, 0xffff2b80, s0, v[6:7]
	v_mul_f64 v[41:42], v[30:31], s[2:3]
	s_sub_i32 s0, s1, s0
	v_mul_f64 v[39:40], v[20:21], s[2:3]
	v_add_nc_u32_e32 v44, s0, v44
	v_add_co_u32 v20, vcc_lo, v43, s5
	v_add_co_ci_u32_e32 v21, vcc_lo, s4, v44, vcc_lo
	v_add_co_u32 v58, vcc_lo, v20, s5
	v_add_co_ci_u32_e32 v59, vcc_lo, s4, v21, vcc_lo
	v_add_co_u32 v60, vcc_lo, v58, s5
	s_waitcnt vmcnt(2)
	v_mov_b32_e32 v37, v17
	s_waitcnt vmcnt(0) lgkmcnt(1)
	v_mul_f64 v[8:9], v[18:19], v[2:3]
	v_mul_f64 v[10:11], v[18:19], v[0:1]
	v_mov_b32_e32 v36, v16
	s_clause 0x3
	buffer_load_dword v16, off, s[28:31], 0 offset:264
	buffer_load_dword v17, off, s[28:31], 0 offset:268
	;; [unrolled: 1-line block ×4, first 2 shown]
	global_store_dwordx4 v[4:5], v[12:15], off
	global_store_dwordx4 v[6:7], v[26:29], off
	ds_read_b128 v[12:15], v38 offset:35200
	v_mul_f64 v[4:5], v[45:46], s[2:3]
	v_mul_f64 v[6:7], v[47:48], s[2:3]
	v_fma_f64 v[26:27], v[36:37], v[0:1], v[8:9]
	v_fma_f64 v[28:29], v[36:37], v[2:3], -v[10:11]
	s_waitcnt vmcnt(0) lgkmcnt(1)
	v_mul_f64 v[32:33], v[18:19], v[24:25]
	v_mul_f64 v[34:35], v[18:19], v[22:23]
	v_mov_b32_e32 v50, v17
	v_mov_b32_e32 v49, v16
	ds_read_b128 v[16:19], v38 offset:28800
	v_fma_f64 v[22:23], v[49:50], v[22:23], v[32:33]
	v_fma_f64 v[24:25], v[49:50], v[24:25], -v[34:35]
	s_clause 0x7
	buffer_load_dword v50, off, s[28:31], 0 offset:280
	buffer_load_dword v51, off, s[28:31], 0 offset:284
	;; [unrolled: 1-line block ×8, first 2 shown]
	global_store_dwordx4 v[43:44], v[4:7], off
	global_store_dwordx4 v[20:21], v[39:42], off
	ds_read_b128 v[8:11], v38 offset:41600
	ds_read_b128 v[0:3], v38 offset:48000
	;; [unrolled: 1-line block ×4, first 2 shown]
	s_waitcnt vmcnt(4) lgkmcnt(4)
	v_mul_f64 v[34:35], v[52:53], v[18:19]
	v_mul_f64 v[36:37], v[52:53], v[16:17]
	s_waitcnt vmcnt(0)
	v_mul_f64 v[30:31], v[48:49], v[14:15]
	v_mul_f64 v[32:33], v[48:49], v[12:13]
	v_fma_f64 v[34:35], v[50:51], v[16:17], v[34:35]
	v_fma_f64 v[36:37], v[50:51], v[18:19], -v[36:37]
	s_clause 0x3
	buffer_load_dword v16, off, s[28:31], 0 offset:24
	buffer_load_dword v17, off, s[28:31], 0 offset:28
	;; [unrolled: 1-line block ×4, first 2 shown]
	v_fma_f64 v[30:31], v[46:47], v[12:13], v[30:31]
	v_fma_f64 v[32:33], v[46:47], v[14:15], -v[32:33]
	s_clause 0x3
	buffer_load_dword v12, off, s[28:31], 0 offset:40
	buffer_load_dword v13, off, s[28:31], 0 offset:44
	;; [unrolled: 1-line block ×4, first 2 shown]
	s_waitcnt vmcnt(4) lgkmcnt(3)
	v_mul_f64 v[42:43], v[18:19], v[10:11]
	v_mul_f64 v[44:45], v[18:19], v[8:9]
	v_mov_b32_e32 v62, v17
	s_waitcnt vmcnt(2)
	v_mov_b32_e32 v64, v13
	s_waitcnt vmcnt(0) lgkmcnt(2)
	v_mul_f64 v[46:47], v[14:15], v[2:3]
	v_mul_f64 v[48:49], v[14:15], v[0:1]
	v_mov_b32_e32 v63, v12
	s_clause 0x3
	buffer_load_dword v12, off, s[28:31], 0 offset:56
	buffer_load_dword v13, off, s[28:31], 0 offset:60
	;; [unrolled: 1-line block ×4, first 2 shown]
	v_mov_b32_e32 v61, v16
	v_mul_f64 v[16:17], v[22:23], s[2:3]
	v_mul_f64 v[18:19], v[24:25], s[2:3]
	v_fma_f64 v[8:9], v[61:62], v[8:9], v[42:43]
	v_fma_f64 v[10:11], v[61:62], v[10:11], -v[44:45]
	v_add_co_ci_u32_e32 v61, vcc_lo, s4, v59, vcc_lo
	v_fma_f64 v[20:21], v[63:64], v[0:1], v[46:47]
	v_fma_f64 v[22:23], v[63:64], v[2:3], -v[48:49]
	v_mul_f64 v[0:1], v[34:35], s[2:3]
	v_add_co_u32 v34, vcc_lo, v60, s5
	v_add_co_ci_u32_e32 v35, vcc_lo, s4, v61, vcc_lo
	v_mul_f64 v[2:3], v[36:37], s[2:3]
	v_mul_f64 v[8:9], v[8:9], s[2:3]
	;; [unrolled: 1-line block ×5, first 2 shown]
	s_waitcnt vmcnt(2)
	v_mov_b32_e32 v66, v13
	s_waitcnt vmcnt(0) lgkmcnt(1)
	v_mul_f64 v[50:51], v[14:15], v[6:7]
	v_mul_f64 v[52:53], v[14:15], v[4:5]
	v_mov_b32_e32 v65, v12
	s_clause 0x3
	buffer_load_dword v12, off, s[28:31], 0 offset:8
	buffer_load_dword v13, off, s[28:31], 0 offset:12
	;; [unrolled: 1-line block ×4, first 2 shown]
	v_fma_f64 v[24:25], v[65:66], v[4:5], v[50:51]
	v_mul_f64 v[4:5], v[30:31], s[2:3]
	v_mul_f64 v[24:25], v[24:25], s[2:3]
	s_waitcnt vmcnt(0) lgkmcnt(0)
	v_mul_f64 v[54:55], v[14:15], v[40:41]
	v_mul_f64 v[56:57], v[14:15], v[38:39]
	v_mov_b32_e32 v68, v13
	v_mov_b32_e32 v67, v12
	v_mul_f64 v[12:13], v[26:27], s[2:3]
	v_fma_f64 v[26:27], v[65:66], v[6:7], -v[52:53]
	v_mul_f64 v[14:15], v[28:29], s[2:3]
	v_mul_f64 v[6:7], v[32:33], s[2:3]
	v_add_co_u32 v32, vcc_lo, v34, s5
	v_add_co_ci_u32_e32 v33, vcc_lo, s4, v35, vcc_lo
	v_add_co_u32 v36, vcc_lo, v32, s5
	v_add_co_ci_u32_e32 v37, vcc_lo, s4, v33, vcc_lo
	v_fma_f64 v[28:29], v[67:68], v[38:39], v[54:55]
	v_fma_f64 v[38:39], v[67:68], v[40:41], -v[56:57]
	v_mul_f64 v[26:27], v[26:27], s[2:3]
	global_store_dwordx4 v[58:59], v[12:15], off
	v_add_co_u32 v12, vcc_lo, v36, s5
	v_add_co_ci_u32_e32 v13, vcc_lo, s4, v37, vcc_lo
	global_store_dwordx4 v[60:61], v[16:19], off
	v_add_co_u32 v14, vcc_lo, v12, s5
	v_add_co_ci_u32_e32 v15, vcc_lo, s4, v13, vcc_lo
	;; [unrolled: 3-line block ×3, first 2 shown]
	v_mul_f64 v[28:29], v[28:29], s[2:3]
	v_mul_f64 v[30:31], v[38:39], s[2:3]
	global_store_dwordx4 v[32:33], v[4:7], off
	global_store_dwordx4 v[36:37], v[8:11], off
	global_store_dwordx4 v[12:13], v[20:23], off
	global_store_dwordx4 v[14:15], v[24:27], off
	global_store_dwordx4 v[0:1], v[28:31], off
.LBB0_2:
	s_endpgm
	.section	.rodata,"a",@progbits
	.p2align	6, 0x0
	.amdhsa_kernel bluestein_single_fwd_len4000_dim1_dp_op_CI_CI
		.amdhsa_group_segment_fixed_size 64000
		.amdhsa_private_segment_fixed_size 576
		.amdhsa_kernarg_size 104
		.amdhsa_user_sgpr_count 6
		.amdhsa_user_sgpr_private_segment_buffer 1
		.amdhsa_user_sgpr_dispatch_ptr 0
		.amdhsa_user_sgpr_queue_ptr 0
		.amdhsa_user_sgpr_kernarg_segment_ptr 1
		.amdhsa_user_sgpr_dispatch_id 0
		.amdhsa_user_sgpr_flat_scratch_init 0
		.amdhsa_user_sgpr_private_segment_size 0
		.amdhsa_wavefront_size32 1
		.amdhsa_uses_dynamic_stack 0
		.amdhsa_system_sgpr_private_segment_wavefront_offset 1
		.amdhsa_system_sgpr_workgroup_id_x 1
		.amdhsa_system_sgpr_workgroup_id_y 0
		.amdhsa_system_sgpr_workgroup_id_z 0
		.amdhsa_system_sgpr_workgroup_info 0
		.amdhsa_system_vgpr_workitem_id 0
		.amdhsa_next_free_vgpr 256
		.amdhsa_next_free_sgpr 32
		.amdhsa_reserve_vcc 1
		.amdhsa_reserve_flat_scratch 0
		.amdhsa_float_round_mode_32 0
		.amdhsa_float_round_mode_16_64 0
		.amdhsa_float_denorm_mode_32 3
		.amdhsa_float_denorm_mode_16_64 3
		.amdhsa_dx10_clamp 1
		.amdhsa_ieee_mode 1
		.amdhsa_fp16_overflow 0
		.amdhsa_workgroup_processor_mode 1
		.amdhsa_memory_ordered 1
		.amdhsa_forward_progress 0
		.amdhsa_shared_vgpr_count 0
		.amdhsa_exception_fp_ieee_invalid_op 0
		.amdhsa_exception_fp_denorm_src 0
		.amdhsa_exception_fp_ieee_div_zero 0
		.amdhsa_exception_fp_ieee_overflow 0
		.amdhsa_exception_fp_ieee_underflow 0
		.amdhsa_exception_fp_ieee_inexact 0
		.amdhsa_exception_int_div_zero 0
	.end_amdhsa_kernel
	.text
.Lfunc_end0:
	.size	bluestein_single_fwd_len4000_dim1_dp_op_CI_CI, .Lfunc_end0-bluestein_single_fwd_len4000_dim1_dp_op_CI_CI
                                        ; -- End function
	.section	.AMDGPU.csdata,"",@progbits
; Kernel info:
; codeLenInByte = 31148
; NumSgprs: 34
; NumVgprs: 256
; ScratchSize: 576
; MemoryBound: 0
; FloatMode: 240
; IeeeMode: 1
; LDSByteSize: 64000 bytes/workgroup (compile time only)
; SGPRBlocks: 4
; VGPRBlocks: 31
; NumSGPRsForWavesPerEU: 34
; NumVGPRsForWavesPerEU: 256
; Occupancy: 4
; WaveLimiterHint : 1
; COMPUTE_PGM_RSRC2:SCRATCH_EN: 1
; COMPUTE_PGM_RSRC2:USER_SGPR: 6
; COMPUTE_PGM_RSRC2:TRAP_HANDLER: 0
; COMPUTE_PGM_RSRC2:TGID_X_EN: 1
; COMPUTE_PGM_RSRC2:TGID_Y_EN: 0
; COMPUTE_PGM_RSRC2:TGID_Z_EN: 0
; COMPUTE_PGM_RSRC2:TIDIG_COMP_CNT: 0
	.text
	.p2alignl 6, 3214868480
	.fill 48, 4, 3214868480
	.type	__hip_cuid_711d2ff7a79288fb,@object ; @__hip_cuid_711d2ff7a79288fb
	.section	.bss,"aw",@nobits
	.globl	__hip_cuid_711d2ff7a79288fb
__hip_cuid_711d2ff7a79288fb:
	.byte	0                               ; 0x0
	.size	__hip_cuid_711d2ff7a79288fb, 1

	.ident	"AMD clang version 19.0.0git (https://github.com/RadeonOpenCompute/llvm-project roc-6.4.0 25133 c7fe45cf4b819c5991fe208aaa96edf142730f1d)"
	.section	".note.GNU-stack","",@progbits
	.addrsig
	.addrsig_sym __hip_cuid_711d2ff7a79288fb
	.amdgpu_metadata
---
amdhsa.kernels:
  - .args:
      - .actual_access:  read_only
        .address_space:  global
        .offset:         0
        .size:           8
        .value_kind:     global_buffer
      - .actual_access:  read_only
        .address_space:  global
        .offset:         8
        .size:           8
        .value_kind:     global_buffer
      - .actual_access:  read_only
        .address_space:  global
        .offset:         16
        .size:           8
        .value_kind:     global_buffer
      - .actual_access:  read_only
        .address_space:  global
        .offset:         24
        .size:           8
        .value_kind:     global_buffer
      - .actual_access:  read_only
        .address_space:  global
        .offset:         32
        .size:           8
        .value_kind:     global_buffer
      - .offset:         40
        .size:           8
        .value_kind:     by_value
      - .address_space:  global
        .offset:         48
        .size:           8
        .value_kind:     global_buffer
      - .address_space:  global
        .offset:         56
        .size:           8
        .value_kind:     global_buffer
      - .address_space:  global
        .offset:         64
        .size:           8
        .value_kind:     global_buffer
      - .address_space:  global
        .offset:         72
        .size:           8
        .value_kind:     global_buffer
      - .offset:         80
        .size:           4
        .value_kind:     by_value
      - .address_space:  global
        .offset:         88
        .size:           8
        .value_kind:     global_buffer
      - .address_space:  global
        .offset:         96
        .size:           8
        .value_kind:     global_buffer
    .group_segment_fixed_size: 64000
    .kernarg_segment_align: 8
    .kernarg_segment_size: 104
    .language:       OpenCL C
    .language_version:
      - 2
      - 0
    .max_flat_workgroup_size: 200
    .name:           bluestein_single_fwd_len4000_dim1_dp_op_CI_CI
    .private_segment_fixed_size: 576
    .sgpr_count:     34
    .sgpr_spill_count: 0
    .symbol:         bluestein_single_fwd_len4000_dim1_dp_op_CI_CI.kd
    .uniform_work_group_size: 1
    .uses_dynamic_stack: false
    .vgpr_count:     256
    .vgpr_spill_count: 143
    .wavefront_size: 32
    .workgroup_processor_mode: 1
amdhsa.target:   amdgcn-amd-amdhsa--gfx1030
amdhsa.version:
  - 1
  - 2
...

	.end_amdgpu_metadata
